;; amdgpu-corpus repo=ROCm/rocFFT kind=compiled arch=gfx950 opt=O3
	.text
	.amdgcn_target "amdgcn-amd-amdhsa--gfx950"
	.amdhsa_code_object_version 6
	.protected	fft_rtc_fwd_len1430_factors_13_11_10_wgs_143_tpt_143_sp_op_CI_CI_unitstride_sbrr_C2R_dirReg ; -- Begin function fft_rtc_fwd_len1430_factors_13_11_10_wgs_143_tpt_143_sp_op_CI_CI_unitstride_sbrr_C2R_dirReg
	.globl	fft_rtc_fwd_len1430_factors_13_11_10_wgs_143_tpt_143_sp_op_CI_CI_unitstride_sbrr_C2R_dirReg
	.p2align	8
	.type	fft_rtc_fwd_len1430_factors_13_11_10_wgs_143_tpt_143_sp_op_CI_CI_unitstride_sbrr_C2R_dirReg,@function
fft_rtc_fwd_len1430_factors_13_11_10_wgs_143_tpt_143_sp_op_CI_CI_unitstride_sbrr_C2R_dirReg: ; @fft_rtc_fwd_len1430_factors_13_11_10_wgs_143_tpt_143_sp_op_CI_CI_unitstride_sbrr_C2R_dirReg
; %bb.0:
	s_load_dwordx4 s[4:7], s[0:1], 0x58
	s_load_dwordx4 s[8:11], s[0:1], 0x0
	;; [unrolled: 1-line block ×3, first 2 shown]
	v_mul_u32_u24_e32 v1, 0x1cb, v0
	v_add_u32_sdwa v6, s2, v1 dst_sel:DWORD dst_unused:UNUSED_PAD src0_sel:DWORD src1_sel:WORD_1
	v_mov_b32_e32 v4, 0
	s_waitcnt lgkmcnt(0)
	v_cmp_lt_u64_e64 s[2:3], s[10:11], 2
	v_mov_b32_e32 v7, v4
	s_and_b64 vcc, exec, s[2:3]
	v_mov_b64_e32 v[2:3], 0
	s_cbranch_vccnz .LBB0_8
; %bb.1:
	s_load_dwordx2 s[2:3], s[0:1], 0x10
	s_add_u32 s16, s14, 8
	s_addc_u32 s17, s15, 0
	s_add_u32 s18, s12, 8
	s_addc_u32 s19, s13, 0
	s_waitcnt lgkmcnt(0)
	s_add_u32 s20, s2, 8
	v_mov_b64_e32 v[2:3], 0
	s_addc_u32 s21, s3, 0
	s_mov_b64 s[22:23], 1
	v_mov_b64_e32 v[22:23], v[2:3]
.LBB0_2:                                ; =>This Inner Loop Header: Depth=1
	s_load_dwordx2 s[24:25], s[20:21], 0x0
                                        ; implicit-def: $vgpr24_vgpr25
	s_waitcnt lgkmcnt(0)
	v_or_b32_e32 v5, s25, v7
	v_cmp_ne_u64_e32 vcc, 0, v[4:5]
	s_and_saveexec_b64 s[2:3], vcc
	s_xor_b64 s[26:27], exec, s[2:3]
	s_cbranch_execz .LBB0_4
; %bb.3:                                ;   in Loop: Header=BB0_2 Depth=1
	v_cvt_f32_u32_e32 v1, s24
	v_cvt_f32_u32_e32 v5, s25
	s_sub_u32 s2, 0, s24
	s_subb_u32 s3, 0, s25
	v_fmac_f32_e32 v1, 0x4f800000, v5
	v_rcp_f32_e32 v1, v1
	s_nop 0
	v_mul_f32_e32 v1, 0x5f7ffffc, v1
	v_mul_f32_e32 v5, 0x2f800000, v1
	v_trunc_f32_e32 v5, v5
	v_fmac_f32_e32 v1, 0xcf800000, v5
	v_cvt_u32_f32_e32 v5, v5
	v_cvt_u32_f32_e32 v1, v1
	v_mul_lo_u32 v8, s2, v5
	v_mul_hi_u32 v10, s2, v1
	v_mul_lo_u32 v9, s3, v1
	v_add_u32_e32 v10, v10, v8
	v_mul_lo_u32 v12, s2, v1
	v_add_u32_e32 v13, v10, v9
	v_mul_hi_u32 v8, v1, v12
	v_mul_hi_u32 v11, v1, v13
	v_mul_lo_u32 v10, v1, v13
	v_mov_b32_e32 v9, v4
	v_lshl_add_u64 v[8:9], v[8:9], 0, v[10:11]
	v_mul_hi_u32 v11, v5, v12
	v_mul_lo_u32 v12, v5, v12
	v_add_co_u32_e32 v8, vcc, v8, v12
	v_mul_hi_u32 v10, v5, v13
	s_nop 0
	v_addc_co_u32_e32 v8, vcc, v9, v11, vcc
	v_mov_b32_e32 v9, v4
	s_nop 0
	v_addc_co_u32_e32 v11, vcc, 0, v10, vcc
	v_mul_lo_u32 v10, v5, v13
	v_lshl_add_u64 v[8:9], v[8:9], 0, v[10:11]
	v_add_co_u32_e32 v1, vcc, v1, v8
	v_mul_lo_u32 v10, s2, v1
	s_nop 0
	v_addc_co_u32_e32 v5, vcc, v5, v9, vcc
	v_mul_lo_u32 v8, s2, v5
	v_mul_hi_u32 v9, s2, v1
	v_add_u32_e32 v8, v9, v8
	v_mul_lo_u32 v9, s3, v1
	v_add_u32_e32 v12, v8, v9
	v_mul_hi_u32 v14, v5, v10
	v_mul_lo_u32 v15, v5, v10
	v_mul_hi_u32 v9, v1, v12
	v_mul_lo_u32 v8, v1, v12
	v_mul_hi_u32 v10, v1, v10
	v_mov_b32_e32 v11, v4
	v_lshl_add_u64 v[8:9], v[10:11], 0, v[8:9]
	v_add_co_u32_e32 v8, vcc, v8, v15
	v_mul_hi_u32 v13, v5, v12
	s_nop 0
	v_addc_co_u32_e32 v8, vcc, v9, v14, vcc
	v_mul_lo_u32 v10, v5, v12
	s_nop 0
	v_addc_co_u32_e32 v11, vcc, 0, v13, vcc
	v_mov_b32_e32 v9, v4
	v_lshl_add_u64 v[8:9], v[8:9], 0, v[10:11]
	v_add_co_u32_e32 v1, vcc, v1, v8
	v_mul_hi_u32 v10, v6, v1
	s_nop 0
	v_addc_co_u32_e32 v5, vcc, v5, v9, vcc
	v_mad_u64_u32 v[8:9], s[2:3], v6, v5, 0
	v_mov_b32_e32 v11, v4
	v_lshl_add_u64 v[8:9], v[10:11], 0, v[8:9]
	v_mad_u64_u32 v[12:13], s[2:3], v7, v1, 0
	v_add_co_u32_e32 v1, vcc, v8, v12
	v_mad_u64_u32 v[10:11], s[2:3], v7, v5, 0
	s_nop 0
	v_addc_co_u32_e32 v8, vcc, v9, v13, vcc
	v_mov_b32_e32 v9, v4
	s_nop 0
	v_addc_co_u32_e32 v11, vcc, 0, v11, vcc
	v_lshl_add_u64 v[8:9], v[8:9], 0, v[10:11]
	v_mul_lo_u32 v1, s25, v8
	v_mul_lo_u32 v5, s24, v9
	v_mad_u64_u32 v[10:11], s[2:3], s24, v8, 0
	v_add3_u32 v1, v11, v5, v1
	v_sub_u32_e32 v5, v7, v1
	v_mov_b32_e32 v11, s25
	v_sub_co_u32_e32 v14, vcc, v6, v10
	v_lshl_add_u64 v[12:13], v[8:9], 0, 1
	s_nop 0
	v_subb_co_u32_e64 v5, s[2:3], v5, v11, vcc
	v_subrev_co_u32_e64 v10, s[2:3], s24, v14
	v_subb_co_u32_e32 v1, vcc, v7, v1, vcc
	s_nop 0
	v_subbrev_co_u32_e64 v5, s[2:3], 0, v5, s[2:3]
	v_cmp_le_u32_e64 s[2:3], s25, v5
	v_cmp_le_u32_e32 vcc, s25, v1
	s_nop 0
	v_cndmask_b32_e64 v11, 0, -1, s[2:3]
	v_cmp_le_u32_e64 s[2:3], s24, v10
	s_nop 1
	v_cndmask_b32_e64 v10, 0, -1, s[2:3]
	v_cmp_eq_u32_e64 s[2:3], s25, v5
	s_nop 1
	v_cndmask_b32_e64 v5, v11, v10, s[2:3]
	v_lshl_add_u64 v[10:11], v[8:9], 0, 2
	v_cmp_ne_u32_e64 s[2:3], 0, v5
	s_nop 1
	v_cndmask_b32_e64 v5, v13, v11, s[2:3]
	v_cndmask_b32_e64 v11, 0, -1, vcc
	v_cmp_le_u32_e32 vcc, s24, v14
	s_nop 1
	v_cndmask_b32_e64 v13, 0, -1, vcc
	v_cmp_eq_u32_e32 vcc, s25, v1
	s_nop 1
	v_cndmask_b32_e32 v1, v11, v13, vcc
	v_cmp_ne_u32_e32 vcc, 0, v1
	v_cndmask_b32_e64 v1, v12, v10, s[2:3]
	s_nop 0
	v_cndmask_b32_e32 v25, v9, v5, vcc
	v_cndmask_b32_e32 v24, v8, v1, vcc
.LBB0_4:                                ;   in Loop: Header=BB0_2 Depth=1
	s_andn2_saveexec_b64 s[2:3], s[26:27]
	s_cbranch_execz .LBB0_6
; %bb.5:                                ;   in Loop: Header=BB0_2 Depth=1
	v_cvt_f32_u32_e32 v1, s24
	s_sub_i32 s26, 0, s24
	v_mov_b32_e32 v25, v4
	v_rcp_iflag_f32_e32 v1, v1
	s_nop 0
	v_mul_f32_e32 v1, 0x4f7ffffe, v1
	v_cvt_u32_f32_e32 v1, v1
	v_mul_lo_u32 v5, s26, v1
	v_mul_hi_u32 v5, v1, v5
	v_add_u32_e32 v1, v1, v5
	v_mul_hi_u32 v1, v6, v1
	v_mul_lo_u32 v5, v1, s24
	v_sub_u32_e32 v5, v6, v5
	v_add_u32_e32 v8, 1, v1
	v_subrev_u32_e32 v9, s24, v5
	v_cmp_le_u32_e32 vcc, s24, v5
	s_nop 1
	v_cndmask_b32_e32 v5, v5, v9, vcc
	v_cndmask_b32_e32 v1, v1, v8, vcc
	v_add_u32_e32 v8, 1, v1
	v_cmp_le_u32_e32 vcc, s24, v5
	s_nop 1
	v_cndmask_b32_e32 v24, v1, v8, vcc
.LBB0_6:                                ;   in Loop: Header=BB0_2 Depth=1
	s_or_b64 exec, exec, s[2:3]
	v_mad_u64_u32 v[8:9], s[2:3], v24, s24, 0
	s_load_dwordx2 s[2:3], s[18:19], 0x0
	v_mul_lo_u32 v1, v25, s24
	v_mul_lo_u32 v5, v24, s25
	s_load_dwordx2 s[24:25], s[16:17], 0x0
	s_add_u32 s22, s22, 1
	v_add3_u32 v1, v9, v5, v1
	v_sub_co_u32_e32 v5, vcc, v6, v8
	s_addc_u32 s23, s23, 0
	s_nop 0
	v_subb_co_u32_e32 v1, vcc, v7, v1, vcc
	s_add_u32 s16, s16, 8
	s_waitcnt lgkmcnt(0)
	v_mul_lo_u32 v6, s2, v1
	v_mul_lo_u32 v7, s3, v5
	v_mad_u64_u32 v[2:3], s[2:3], s2, v5, v[2:3]
	s_addc_u32 s17, s17, 0
	v_add3_u32 v3, v7, v3, v6
	v_mul_lo_u32 v1, s24, v1
	v_mul_lo_u32 v6, s25, v5
	v_mad_u64_u32 v[22:23], s[2:3], s24, v5, v[22:23]
	s_add_u32 s18, s18, 8
	v_add3_u32 v23, v6, v23, v1
	s_addc_u32 s19, s19, 0
	v_mov_b64_e32 v[6:7], s[10:11]
	s_add_u32 s20, s20, 8
	v_cmp_ge_u64_e32 vcc, s[22:23], v[6:7]
	s_addc_u32 s21, s21, 0
	s_cbranch_vccnz .LBB0_9
; %bb.7:                                ;   in Loop: Header=BB0_2 Depth=1
	v_mov_b64_e32 v[6:7], v[24:25]
	s_branch .LBB0_2
.LBB0_8:
	v_mov_b64_e32 v[22:23], v[2:3]
	v_mov_b64_e32 v[24:25], v[6:7]
.LBB0_9:
	s_load_dwordx2 s[18:19], s[0:1], 0x28
	s_lshl_b64 s[16:17], s[10:11], 3
	s_add_u32 s2, s14, s16
	s_addc_u32 s3, s15, s17
                                        ; implicit-def: $vgpr26
	s_waitcnt lgkmcnt(0)
	v_cmp_gt_u64_e64 s[0:1], s[18:19], v[24:25]
	v_cmp_le_u64_e32 vcc, s[18:19], v[24:25]
	s_and_saveexec_b64 s[10:11], vcc
	s_xor_b64 s[10:11], exec, s[10:11]
; %bb.10:
	s_mov_b32 s14, 0x1ca4b31
	v_mul_hi_u32 v1, v0, s14
	v_mul_u32_u24_e32 v1, 0x8f, v1
	v_sub_u32_e32 v26, v0, v1
                                        ; implicit-def: $vgpr0
                                        ; implicit-def: $vgpr2_vgpr3
; %bb.11:
	s_or_saveexec_b64 s[10:11], s[10:11]
	s_load_dwordx2 s[2:3], s[2:3], 0x0
	s_xor_b64 exec, exec, s[10:11]
	s_cbranch_execz .LBB0_15
; %bb.12:
	s_add_u32 s12, s12, s16
	s_addc_u32 s13, s13, s17
	s_load_dwordx2 s[12:13], s[12:13], 0x0
	s_mov_b32 s14, 0x1ca4b31
	s_waitcnt lgkmcnt(0)
	v_mul_lo_u32 v1, s13, v24
	v_mul_lo_u32 v6, s12, v25
	v_mad_u64_u32 v[4:5], s[12:13], s12, v24, 0
	v_add3_u32 v5, v5, v6, v1
	v_mul_hi_u32 v1, v0, s14
	v_mul_u32_u24_e32 v1, 0x8f, v1
	v_sub_u32_e32 v26, v0, v1
	v_lshl_add_u64 v[0:1], v[4:5], 3, s[4:5]
	v_lshl_add_u64 v[2:3], v[2:3], 3, v[0:1]
	v_lshlrev_b32_e32 v0, 3, v26
	v_mov_b32_e32 v1, 0
	v_lshl_add_u64 v[4:5], v[2:3], 0, v[0:1]
	s_movk_i32 s4, 0x1000
	v_add_co_u32_e32 v14, vcc, s4, v4
	global_load_dwordx2 v[6:7], v[4:5], off
	global_load_dwordx2 v[8:9], v[4:5], off offset:1144
	global_load_dwordx2 v[10:11], v[4:5], off offset:2288
	;; [unrolled: 1-line block ×3, first 2 shown]
	v_addc_co_u32_e32 v15, vcc, 0, v5, vcc
	v_add_co_u32_e32 v4, vcc, 0x2000, v4
	global_load_dwordx2 v[16:17], v[14:15], off offset:480
	global_load_dwordx2 v[18:19], v[14:15], off offset:1624
	;; [unrolled: 1-line block ×4, first 2 shown]
	v_addc_co_u32_e32 v5, vcc, 0, v5, vcc
	global_load_dwordx2 v[14:15], v[4:5], off offset:960
	global_load_dwordx2 v[30:31], v[4:5], off offset:2104
	s_movk_i32 s4, 0x8e
	v_add_u32_e32 v0, 0, v0
	v_cmp_eq_u32_e32 vcc, s4, v26
	v_add_u32_e32 v4, 0x800, v0
	v_add_u32_e32 v5, 0x1000, v0
	;; [unrolled: 1-line block ×4, first 2 shown]
	s_waitcnt vmcnt(8)
	ds_write2_b64 v0, v[6:7], v[8:9] offset1:143
	s_waitcnt vmcnt(6)
	ds_write2_b64 v4, v[10:11], v[12:13] offset0:30 offset1:173
	s_waitcnt vmcnt(4)
	ds_write2_b64 v5, v[16:17], v[18:19] offset0:60 offset1:203
	;; [unrolled: 2-line block ×4, first 2 shown]
	s_and_saveexec_b64 s[4:5], vcc
	s_cbranch_execz .LBB0_14
; %bb.13:
	v_add_co_u32_e32 v2, vcc, 0x2000, v2
	v_mov_b32_e32 v26, 0x8e
	s_nop 0
	v_addc_co_u32_e32 v3, vcc, 0, v3, vcc
	global_load_dwordx2 v[2:3], v[2:3], off offset:3248
	s_waitcnt vmcnt(0)
	ds_write_b64 v1, v[2:3] offset:11440
.LBB0_14:
	s_or_b64 exec, exec, s[4:5]
.LBB0_15:
	s_or_b64 exec, exec, s[10:11]
	v_lshlrev_b32_e32 v0, 3, v26
	v_add_u32_e32 v124, 0, v0
	s_waitcnt lgkmcnt(0)
	s_barrier
	v_sub_u32_e32 v4, 0, v0
	ds_read_b32 v1, v124
	ds_read_b32 v2, v4 offset:11440
	s_add_u32 s4, s8, 0x2c48
	s_addc_u32 s5, s9, 0
	v_cmp_ne_u32_e32 vcc, 0, v26
	s_waitcnt lgkmcnt(0)
	v_add_f32_e32 v0, v2, v1
	v_sub_f32_e32 v1, v1, v2
                                        ; implicit-def: $vgpr2_vgpr3
	s_and_saveexec_b64 s[10:11], vcc
	s_xor_b64 s[10:11], exec, s[10:11]
	s_cbranch_execz .LBB0_17
; %bb.16:
	v_mov_b32_e32 v27, 0
	v_lshl_add_u64 v[2:3], v[26:27], 3, s[4:5]
	global_load_dwordx2 v[6:7], v[2:3], off
	ds_read_b32 v5, v4 offset:11444
	ds_read_b32 v11, v124 offset:4
	v_mov_b32_e32 v8, v1
	v_mov_b32_e32 v10, v0
	;; [unrolled: 1-line block ×3, first 2 shown]
	v_mov_b64_e32 v[2:3], v[26:27]
	s_waitcnt lgkmcnt(0)
	v_add_f32_e32 v9, v5, v11
	v_sub_f32_e32 v11, v11, v5
	v_mov_b32_e32 v12, v9
	s_waitcnt vmcnt(0)
	v_pk_mul_f32 v[14:15], v[8:9], v[6:7] op_sel:[0,1]
	v_pk_fma_f32 v[8:9], v[8:9], v[6:7], v[10:11] op_sel:[0,1,0]
	v_mov_b32_e32 v1, v15
	v_mov_b32_e32 v15, v11
	v_pk_fma_f32 v[16:17], v[6:7], v[12:13], v[8:9] neg_lo:[1,0,0] neg_hi:[1,0,0]
	v_pk_fma_f32 v[8:9], v[6:7], v[12:13], v[8:9] op_sel_hi:[0,1,1]
	v_pk_add_f32 v[0:1], v[0:1], v[14:15] neg_lo:[0,1] neg_hi:[0,1]
	v_mov_b32_e32 v17, v9
	v_pk_fma_f32 v[0:1], v[6:7], v[12:13], v[0:1] op_sel_hi:[0,1,1]
	ds_write_b64 v4, v[0:1] offset:11440
	v_mov_b64_e32 v[0:1], v[16:17]
.LBB0_17:
	s_andn2_saveexec_b64 s[10:11], s[10:11]
	s_cbranch_execz .LBB0_19
; %bb.18:
	v_mov_b32_e32 v5, 0
	ds_read_b64 v[2:3], v5 offset:5720
	s_mov_b32 s12, 2.0
	s_mov_b32 s13, -2.0
	s_waitcnt lgkmcnt(0)
	v_pk_mul_f32 v[2:3], v[2:3], s[12:13]
	ds_write_b64 v5, v[2:3] offset:5720
	v_mov_b64_e32 v[2:3], 0
.LBB0_19:
	s_or_b64 exec, exec, s[10:11]
	v_lshl_add_u64 v[2:3], v[2:3], 3, s[4:5]
	global_load_dwordx2 v[6:7], v[2:3], off offset:1144
	global_load_dwordx2 v[8:9], v[2:3], off offset:2288
	;; [unrolled: 1-line block ×3, first 2 shown]
	s_movk_i32 s4, 0x1000
	v_add_co_u32_e32 v2, vcc, s4, v2
	ds_write_b64 v124, v[0:1]
	s_nop 0
	v_addc_co_u32_e32 v3, vcc, 0, v3, vcc
	global_load_dwordx2 v[2:3], v[2:3], off offset:480
	ds_read_b64 v[0:1], v124 offset:1144
	ds_read_b64 v[12:13], v4 offset:10296
	v_add_u32_e32 v5, 0x400, v124
	v_add_u32_e32 v20, 0x1800, v124
	;; [unrolled: 1-line block ×3, first 2 shown]
	s_mov_b32 s10, 0x3f62ad3f
	s_waitcnt lgkmcnt(0)
	v_pk_add_f32 v[14:15], v[0:1], v[12:13]
	v_pk_add_f32 v[0:1], v[0:1], v[12:13] neg_lo:[0,1] neg_hi:[0,1]
	v_mov_b32_e32 v12, v15
	v_mov_b32_e32 v13, v0
	;; [unrolled: 1-line block ×3, first 2 shown]
	s_mov_b32 s14, 0x3eedf032
	s_mov_b32 s12, 0x3f116cb1
	;; [unrolled: 1-line block ×16, first 2 shown]
	s_waitcnt vmcnt(3)
	v_pk_mul_f32 v[16:17], v[12:13], v[6:7] op_sel:[0,1]
	s_nop 0
	v_pk_add_f32 v[18:19], v[14:15], v[16:17] op_sel:[0,1] op_sel_hi:[1,0]
	v_mov_b32_e32 v15, v16
	v_mov_b32_e32 v0, v17
	v_pk_fma_f32 v[16:17], v[6:7], v[12:13], v[18:19] neg_lo:[1,0,0] neg_hi:[1,0,0]
	v_pk_fma_f32 v[18:19], v[6:7], v[12:13], v[18:19] op_sel_hi:[0,1,1]
	v_pk_add_f32 v[0:1], v[14:15], v[0:1] neg_lo:[0,1] neg_hi:[0,1]
	v_mov_b32_e32 v17, v19
	v_pk_fma_f32 v[0:1], v[6:7], v[12:13], v[0:1] op_sel_hi:[0,1,1]
	ds_write_b64 v124, v[16:17] offset:1144
	ds_write_b64 v4, v[0:1] offset:10296
	ds_read_b64 v[0:1], v4 offset:9152
	ds_read_b64 v[6:7], v124 offset:2288
	v_add_u32_e32 v18, 0xc00, v124
	v_add_u32_e32 v19, 0x1400, v124
	s_waitcnt lgkmcnt(0)
	v_pk_add_f32 v[12:13], v[6:7], v[0:1]
	v_pk_add_f32 v[0:1], v[6:7], v[0:1] neg_lo:[0,1] neg_hi:[0,1]
	v_mov_b32_e32 v6, v13
	v_mov_b32_e32 v7, v0
	;; [unrolled: 1-line block ×3, first 2 shown]
	s_waitcnt vmcnt(2)
	v_pk_mul_f32 v[14:15], v[6:7], v[8:9] op_sel:[0,1]
	s_nop 0
	v_pk_add_f32 v[16:17], v[12:13], v[14:15] op_sel:[0,1] op_sel_hi:[1,0]
	v_mov_b32_e32 v13, v14
	v_mov_b32_e32 v0, v15
	v_pk_fma_f32 v[14:15], v[8:9], v[6:7], v[16:17] neg_lo:[1,0,0] neg_hi:[1,0,0]
	v_pk_fma_f32 v[16:17], v[8:9], v[6:7], v[16:17] op_sel_hi:[0,1,1]
	v_pk_add_f32 v[0:1], v[12:13], v[0:1] neg_lo:[0,1] neg_hi:[0,1]
	v_mov_b32_e32 v15, v17
	v_pk_fma_f32 v[0:1], v[8:9], v[6:7], v[0:1] op_sel_hi:[0,1,1]
	ds_write_b64 v124, v[14:15] offset:2288
	ds_write_b64 v4, v[0:1] offset:9152
	ds_read_b64 v[0:1], v4 offset:8008
	ds_read_b64 v[6:7], v124 offset:3432
	s_waitcnt lgkmcnt(0)
	v_pk_add_f32 v[8:9], v[6:7], v[0:1]
	v_pk_add_f32 v[0:1], v[6:7], v[0:1] neg_lo:[0,1] neg_hi:[0,1]
	v_mov_b32_e32 v6, v9
	v_mov_b32_e32 v7, v0
	;; [unrolled: 1-line block ×3, first 2 shown]
	s_waitcnt vmcnt(1)
	v_pk_mul_f32 v[12:13], v[6:7], v[10:11] op_sel:[0,1]
	s_nop 0
	v_pk_add_f32 v[14:15], v[8:9], v[12:13] op_sel:[0,1] op_sel_hi:[1,0]
	v_mov_b32_e32 v9, v12
	v_mov_b32_e32 v0, v13
	v_pk_fma_f32 v[12:13], v[10:11], v[6:7], v[14:15] neg_lo:[1,0,0] neg_hi:[1,0,0]
	v_pk_fma_f32 v[14:15], v[10:11], v[6:7], v[14:15] op_sel_hi:[0,1,1]
	v_pk_add_f32 v[0:1], v[8:9], v[0:1] neg_lo:[0,1] neg_hi:[0,1]
	v_mov_b32_e32 v13, v15
	v_pk_fma_f32 v[0:1], v[10:11], v[6:7], v[0:1] op_sel_hi:[0,1,1]
	ds_write_b64 v124, v[12:13] offset:3432
	ds_write_b64 v4, v[0:1] offset:8008
	ds_read_b64 v[0:1], v4 offset:6864
	ds_read_b64 v[6:7], v124 offset:4576
	s_waitcnt lgkmcnt(0)
	v_pk_add_f32 v[8:9], v[6:7], v[0:1]
	v_pk_add_f32 v[0:1], v[6:7], v[0:1] neg_lo:[0,1] neg_hi:[0,1]
	v_mov_b32_e32 v6, v9
	v_mov_b32_e32 v7, v0
	;; [unrolled: 1-line block ×3, first 2 shown]
	s_waitcnt vmcnt(0)
	v_pk_mul_f32 v[10:11], v[6:7], v[2:3] op_sel:[0,1]
	s_nop 0
	v_pk_add_f32 v[12:13], v[8:9], v[10:11] op_sel:[0,1] op_sel_hi:[1,0]
	v_mov_b32_e32 v9, v10
	v_mov_b32_e32 v0, v11
	v_pk_fma_f32 v[10:11], v[2:3], v[6:7], v[12:13] neg_lo:[1,0,0] neg_hi:[1,0,0]
	v_pk_fma_f32 v[12:13], v[2:3], v[6:7], v[12:13] op_sel_hi:[0,1,1]
	v_pk_add_f32 v[0:1], v[8:9], v[0:1] neg_lo:[0,1] neg_hi:[0,1]
	v_mov_b32_e32 v11, v13
	v_pk_fma_f32 v[0:1], v[2:3], v[6:7], v[0:1] op_sel_hi:[0,1,1]
	ds_write_b64 v124, v[10:11] offset:4576
	ds_write_b64 v4, v[0:1] offset:6864
	s_waitcnt lgkmcnt(0)
	s_barrier
	s_barrier
	ds_read2_b64 v[8:11], v124 offset1:110
	ds_read2_b64 v[0:3], v5 offset0:92 offset1:202
	ds_read_b64 v[16:17], v124 offset:10560
	ds_read2_b64 v[4:7], v18 offset0:56 offset1:166
	ds_read2_b64 v[12:15], v21 offset0:76 offset1:186
	;; [unrolled: 1-line block ×4, first 2 shown]
	s_waitcnt lgkmcnt(4)
	v_pk_add_f32 v[76:77], v[16:17], v[10:11]
	v_pk_add_f32 v[80:81], v[10:11], v[16:17] neg_lo:[0,1] neg_hi:[0,1]
	v_pk_add_f32 v[10:11], v[8:9], v[10:11]
	s_waitcnt lgkmcnt(2)
	v_pk_add_f32 v[72:73], v[14:15], v[0:1]
	v_pk_add_f32 v[78:79], v[0:1], v[14:15] neg_lo:[0,1] neg_hi:[0,1]
	v_pk_add_f32 v[0:1], v[10:11], v[0:1]
	s_waitcnt lgkmcnt(0)
	v_pk_add_f32 v[68:69], v[4:5], v[34:35] neg_lo:[0,1] neg_hi:[0,1]
	v_pk_add_f32 v[0:1], v[0:1], v[2:3]
	v_pk_add_f32 v[62:63], v[34:35], v[4:5]
	;; [unrolled: 1-line block ×3, first 2 shown]
	v_pk_add_f32 v[64:65], v[6:7], v[32:33] neg_lo:[0,1] neg_hi:[0,1]
	v_pk_add_f32 v[0:1], v[0:1], v[6:7]
	v_pk_mul_f32 v[36:37], v[68:69], s[14:15] op_sel_hi:[1,0]
	v_mov_b32_e32 v10, v81
	v_pk_add_f32 v[0:1], v[0:1], v[28:29]
	v_mov_b32_e32 v11, v77
	v_pk_add_f32 v[60:61], v[32:33], v[6:7]
	v_pk_add_f32 v[18:19], v[30:31], v[28:29]
	v_pk_add_f32 v[20:21], v[28:29], v[30:31] neg_lo:[0,1] neg_hi:[0,1]
	v_pk_mul_f32 v[38:39], v[64:65], s[18:19] op_sel_hi:[1,0]
	v_pk_fma_f32 v[114:115], v[62:63], s[10:11], v[36:37] op_sel:[0,0,1] op_sel_hi:[1,0,0] neg_lo:[0,0,1] neg_hi:[0,0,1]
	v_pk_fma_f32 v[54:55], v[62:63], s[10:11], v[36:37] op_sel:[0,0,1] op_sel_hi:[1,0,0]
	v_pk_add_f32 v[0:1], v[0:1], v[30:31]
	v_pk_mul_f32 v[28:29], v[10:11], s[16:17]
	v_mov_b32_e32 v52, v76
	v_mov_b32_e32 v53, v80
	s_mov_b32 s11, s16
	v_mov_b32_e32 v4, v79
	v_mov_b32_e32 v5, v73
	s_mov_b32 s19, s12
	v_pk_add_f32 v[66:67], v[12:13], v[2:3]
	v_pk_add_f32 v[74:75], v[2:3], v[12:13] neg_lo:[0,1] neg_hi:[0,1]
	v_pk_fma_f32 v[116:117], v[60:61], s[12:13], v[38:39] op_sel:[0,0,1] op_sel_hi:[1,0,0] neg_lo:[0,0,1] neg_hi:[0,0,1]
	v_pk_fma_f32 v[56:57], v[60:61], s[12:13], v[38:39] op_sel:[0,0,1] op_sel_hi:[1,0,0]
	v_pk_add_f32 v[0:1], v[0:1], v[32:33]
	v_pk_fma_f32 v[30:31], v[52:53], s[10:11], v[28:29]
	v_pk_fma_f32 v[2:3], v[52:53], s[10:11], v[28:29] neg_lo:[0,0,1] neg_hi:[0,0,1]
	v_pk_mul_f32 v[32:33], v[4:5], s[18:19]
	v_mov_b32_e32 v58, v72
	v_mov_b32_e32 v59, v78
	s_mov_b32 s13, s18
	v_pk_add_f32 v[0:1], v[0:1], v[34:35]
	v_mov_b32_e32 v3, v31
	v_pk_fma_f32 v[34:35], v[58:59], s[12:13], v[32:33]
	v_pk_fma_f32 v[4:5], v[58:59], s[12:13], v[32:33] neg_lo:[0,0,1] neg_hi:[0,0,1]
	v_pk_add_f32 v[2:3], v[8:9], v[2:3]
	v_mov_b32_e32 v5, v35
	v_pk_add_f32 v[2:3], v[4:5], v[2:3]
	v_pk_mul_f32 v[4:5], v[80:81], s[20:21] op_sel_hi:[1,0]
	s_mov_b32 s21, s4
	v_pk_fma_f32 v[6:7], v[76:77], s[4:5], v[4:5] op_sel:[0,0,1] op_sel_hi:[1,0,0] neg_lo:[0,0,1] neg_hi:[0,0,1]
	v_pk_fma_f32 v[84:85], v[76:77], s[4:5], v[4:5] op_sel:[0,0,1] op_sel_hi:[1,0,0]
	v_mov_b32_e32 v4, v75
	v_mov_b32_e32 v5, v67
	v_pk_mul_f32 v[36:37], v[4:5], s[20:21]
	v_mov_b32_e32 v70, v66
	v_mov_b32_e32 v71, v74
	s_mov_b32 s5, s20
	v_pk_fma_f32 v[38:39], v[70:71], s[4:5], v[36:37]
	v_pk_fma_f32 v[4:5], v[70:71], s[4:5], v[36:37] neg_lo:[0,0,1] neg_hi:[0,0,1]
	s_mov_b32 s16, 0xbeb58ec6
	v_mov_b32_e32 v5, v39
	v_pk_add_f32 v[2:3], v[4:5], v[2:3]
	v_pk_mul_f32 v[4:5], v[74:75], s[22:23] op_sel_hi:[1,0]
	s_mov_b32 s27, s16
	v_pk_fma_f32 v[10:11], v[66:67], s[16:17], v[4:5] op_sel:[0,0,1] op_sel_hi:[1,0,0] neg_lo:[0,0,1] neg_hi:[0,0,1]
	v_pk_fma_f32 v[94:95], v[66:67], s[16:17], v[4:5] op_sel:[0,0,1] op_sel_hi:[1,0,0]
	v_mov_b32_e32 v4, v69
	v_mov_b32_e32 v5, v63
	v_pk_mul_f32 v[40:41], v[4:5], s[26:27]
	v_mov_b32_e32 v88, v62
	v_mov_b32_e32 v89, v68
	s_mov_b32 s17, s26
	v_pk_fma_f32 v[42:43], v[88:89], s[16:17], v[40:41]
	v_pk_fma_f32 v[4:5], v[88:89], s[16:17], v[40:41] neg_lo:[0,0,1] neg_hi:[0,0,1]
	v_mov_b32_e32 v96, v60
	v_mov_b32_e32 v5, v43
	v_pk_add_f32 v[2:3], v[4:5], v[2:3]
	v_mov_b32_e32 v4, v65
	v_mov_b32_e32 v5, v61
	v_pk_mul_f32 v[44:45], v[4:5], s[28:29]
	v_mov_b32_e32 v97, v64
	s_mov_b32 s22, s29
	s_mov_b32 s23, s28
	v_pk_fma_f32 v[46:47], v[96:97], s[22:23], v[44:45]
	v_pk_fma_f32 v[4:5], v[96:97], s[22:23], v[44:45] neg_lo:[0,0,1] neg_hi:[0,0,1]
	v_pk_add_f32 v[0:1], v[0:1], v[12:13]
	v_mov_b32_e32 v5, v47
	v_pk_add_f32 v[2:3], v[4:5], v[2:3]
	v_pk_mul_f32 v[4:5], v[78:79], s[30:31] op_sel_hi:[1,0]
	s_mov_b32 s31, s24
	v_pk_fma_f32 v[12:13], v[72:73], s[24:25], v[4:5] op_sel:[0,0,1] op_sel_hi:[1,0,0] neg_lo:[0,0,1] neg_hi:[0,0,1]
	v_pk_fma_f32 v[112:113], v[72:73], s[24:25], v[4:5] op_sel:[0,0,1] op_sel_hi:[1,0,0]
	v_mov_b32_e32 v4, v21
	v_mov_b32_e32 v5, v19
	v_pk_mul_f32 v[48:49], v[4:5], s[30:31]
	v_mov_b32_e32 v110, v18
	v_mov_b32_e32 v111, v20
	s_mov_b32 s25, s30
	v_pk_fma_f32 v[50:51], v[110:111], s[24:25], v[48:49]
	v_pk_fma_f32 v[4:5], v[110:111], s[24:25], v[48:49] neg_lo:[0,0,1] neg_hi:[0,0,1]
	v_pk_add_f32 v[0:1], v[0:1], v[14:15]
	v_mov_b32_e32 v5, v51
	v_pk_add_f32 v[2:3], v[4:5], v[2:3]
	v_pk_mul_f32 v[4:5], v[80:81], s[18:19] op_sel_hi:[1,0]
	v_pk_mul_f32 v[14:15], v[78:79], s[26:27] op_sel_hi:[1,0]
	v_pk_fma_f32 v[82:83], v[76:77], s[12:13], v[4:5] op_sel:[0,0,1] op_sel_hi:[1,0,0] neg_lo:[0,0,1] neg_hi:[0,0,1]
	v_pk_fma_f32 v[86:87], v[76:77], s[12:13], v[4:5] op_sel:[0,0,1] op_sel_hi:[1,0,0]
	v_mov_b32_e32 v4, v82
	v_mov_b32_e32 v5, v87
	v_pk_fma_f32 v[90:91], v[72:73], s[16:17], v[14:15] op_sel:[0,0,1] op_sel_hi:[1,0,0] neg_lo:[0,0,1] neg_hi:[0,0,1]
	v_pk_fma_f32 v[92:93], v[72:73], s[16:17], v[14:15] op_sel:[0,0,1] op_sel_hi:[1,0,0]
	v_mov_b32_e32 v14, v90
	v_mov_b32_e32 v15, v93
	v_pk_add_f32 v[4:5], v[8:9], v[4:5]
	v_mov_b32_e32 v119, v7
	v_pk_add_f32 v[4:5], v[14:15], v[4:5]
	v_pk_mul_f32 v[14:15], v[74:75], s[30:31] op_sel_hi:[1,0]
	v_mov_b32_e32 v7, v85
	v_pk_fma_f32 v[98:99], v[66:67], s[24:25], v[14:15] op_sel:[0,0,1] op_sel_hi:[1,0,0] neg_lo:[0,0,1] neg_hi:[0,0,1]
	v_pk_fma_f32 v[100:101], v[66:67], s[24:25], v[14:15] op_sel:[0,0,1] op_sel_hi:[1,0,0]
	v_mov_b32_e32 v14, v98
	v_mov_b32_e32 v15, v101
	v_pk_add_f32 v[4:5], v[14:15], v[4:5]
	v_pk_mul_f32 v[14:15], v[68:69], s[38:39] op_sel_hi:[1,0]
	v_mov_b32_e32 v85, v13
	v_pk_fma_f32 v[102:103], v[62:63], s[36:37], v[14:15] op_sel:[0,0,1] op_sel_hi:[1,0,0] neg_lo:[0,0,1] neg_hi:[0,0,1]
	v_pk_fma_f32 v[104:105], v[62:63], s[36:37], v[14:15] op_sel:[0,0,1] op_sel_hi:[1,0,0]
	v_mov_b32_e32 v13, v113
	v_pk_add_f32 v[6:7], v[8:9], v[6:7]
	v_mov_b32_e32 v14, v102
	v_mov_b32_e32 v15, v105
	v_pk_add_f32 v[6:7], v[12:13], v[6:7]
	v_mov_b32_e32 v113, v11
	v_mov_b32_e32 v11, v95
	v_pk_add_f32 v[4:5], v[14:15], v[4:5]
	v_pk_mul_f32 v[14:15], v[64:65], s[34:35] op_sel_hi:[1,0]
	v_pk_add_f32 v[6:7], v[10:11], v[6:7]
	v_mov_b32_e32 v95, v115
	v_mov_b32_e32 v115, v55
	v_pk_fma_f32 v[106:107], v[60:61], s[4:5], v[14:15] op_sel:[0,0,1] op_sel_hi:[1,0,0] neg_lo:[0,0,1] neg_hi:[0,0,1]
	v_pk_fma_f32 v[108:109], v[60:61], s[4:5], v[14:15] op_sel:[0,0,1] op_sel_hi:[1,0,0]
	v_pk_add_f32 v[6:7], v[114:115], v[6:7]
	v_mov_b32_e32 v55, v117
	v_mov_b32_e32 v117, v57
	v_pk_mul_f32 v[10:11], v[20:21], s[14:15] op_sel_hi:[1,0]
	v_mov_b32_e32 v14, v106
	v_mov_b32_e32 v15, v109
	v_pk_add_f32 v[6:7], v[116:117], v[6:7]
	v_pk_fma_f32 v[114:115], v[18:19], s[10:11], v[10:11] op_sel:[0,0,1] op_sel_hi:[1,0,0] neg_lo:[0,0,1] neg_hi:[0,0,1]
	v_pk_fma_f32 v[116:117], v[18:19], s[10:11], v[10:11] op_sel:[0,0,1] op_sel_hi:[1,0,0]
	v_pk_add_f32 v[4:5], v[14:15], v[4:5]
	v_mov_b32_e32 v10, v114
	v_mov_b32_e32 v11, v117
	v_pk_add_f32 v[4:5], v[10:11], v[4:5]
	v_pk_mul_f32 v[10:11], v[20:21], s[28:29] op_sel_hi:[1,0]
	v_pk_add_f32 v[0:1], v[0:1], v[16:17]
	v_pk_fma_f32 v[120:121], v[18:19], s[36:37], v[10:11] op_sel:[0,0,1] op_sel_hi:[1,0,0] neg_lo:[0,0,1] neg_hi:[0,0,1]
	v_pk_fma_f32 v[122:123], v[18:19], s[36:37], v[10:11] op_sel:[0,0,1] op_sel_hi:[1,0,0]
	v_mov_b32_e32 v10, v120
	v_mov_b32_e32 v11, v123
	v_pk_add_f32 v[6:7], v[10:11], v[6:7]
	v_pk_mul_f32 v[10:11], v[80:81], s[26:27] op_sel_hi:[1,0]
	v_mov_b32_e32 v118, v84
	v_pk_fma_f32 v[12:13], v[76:77], s[16:17], v[10:11] op_sel:[0,0,1] op_sel_hi:[1,0,0] neg_lo:[0,0,1] neg_hi:[0,0,1]
	v_pk_fma_f32 v[14:15], v[76:77], s[16:17], v[10:11] op_sel:[0,0,1] op_sel_hi:[1,0,0]
	v_pk_mul_f32 v[10:11], v[78:79], s[38:39] op_sel_hi:[1,0]
	v_mov_b32_e32 v129, v13
	v_pk_fma_f32 v[16:17], v[72:73], s[36:37], v[10:11] op_sel:[0,0,1] op_sel_hi:[1,0,0] neg_lo:[0,0,1] neg_hi:[0,0,1]
	v_pk_fma_f32 v[126:127], v[72:73], s[36:37], v[10:11] op_sel:[0,0,1] op_sel_hi:[1,0,0]
	v_mov_b32_e32 v13, v15
	v_mov_b32_e32 v15, v17
	;; [unrolled: 1-line block ×3, first 2 shown]
	v_pk_add_f32 v[10:11], v[8:9], v[12:13]
	v_pk_mul_f32 v[12:13], v[74:75], s[14:15] op_sel_hi:[1,0]
	v_pk_add_f32 v[10:11], v[16:17], v[10:11]
	v_pk_fma_f32 v[16:17], v[66:67], s[10:11], v[12:13] op_sel:[0,0,1] op_sel_hi:[1,0,0] neg_lo:[0,0,1] neg_hi:[0,0,1]
	v_pk_fma_f32 v[130:131], v[66:67], s[10:11], v[12:13] op_sel:[0,0,1] op_sel_hi:[1,0,0]
	v_mov_b32_e32 v127, v17
	v_mov_b32_e32 v17, v131
	v_pk_mul_f32 v[12:13], v[68:69], s[20:21] op_sel_hi:[1,0]
	v_pk_add_f32 v[10:11], v[16:17], v[10:11]
	v_pk_fma_f32 v[16:17], v[62:63], s[4:5], v[12:13] op_sel:[0,0,1] op_sel_hi:[1,0,0] neg_lo:[0,0,1] neg_hi:[0,0,1]
	v_pk_fma_f32 v[132:133], v[62:63], s[4:5], v[12:13] op_sel:[0,0,1] op_sel_hi:[1,0,0]
	s_mov_b32 s20, 0x3e750f2a
	v_mov_b32_e32 v131, v17
	v_mov_b32_e32 v17, v133
	v_pk_mul_f32 v[12:13], v[64:65], s[20:21] op_sel_hi:[1,0]
	v_pk_add_f32 v[10:11], v[16:17], v[10:11]
	v_pk_fma_f32 v[16:17], v[60:61], s[24:25], v[12:13] op_sel:[0,0,1] op_sel_hi:[1,0,0] neg_lo:[0,0,1] neg_hi:[0,0,1]
	v_pk_fma_f32 v[134:135], v[60:61], s[24:25], v[12:13] op_sel:[0,0,1] op_sel_hi:[1,0,0]
	v_mov_b32_e32 v133, v17
	v_mov_b32_e32 v17, v135
	v_pk_mul_f32 v[12:13], v[80:81], s[28:29] op_sel_hi:[1,0]
	v_pk_add_f32 v[10:11], v[16:17], v[10:11]
	v_pk_fma_f32 v[16:17], v[76:77], s[36:37], v[12:13] op_sel:[0,0,1] op_sel_hi:[1,0,0] neg_lo:[0,0,1] neg_hi:[0,0,1]
	v_pk_fma_f32 v[136:137], v[76:77], s[36:37], v[12:13] op_sel:[0,0,1] op_sel_hi:[1,0,0]
	v_pk_mul_f32 v[12:13], v[78:79], s[34:35] op_sel_hi:[1,0]
	v_mov_b32_e32 v135, v17
	v_pk_fma_f32 v[138:139], v[72:73], s[4:5], v[12:13] op_sel:[0,0,1] op_sel_hi:[1,0,0] neg_lo:[0,0,1] neg_hi:[0,0,1]
	v_pk_fma_f32 v[140:141], v[72:73], s[4:5], v[12:13] op_sel:[0,0,1] op_sel_hi:[1,0,0]
	v_mov_b32_e32 v17, v137
	v_mov_b32_e32 v137, v139
	;; [unrolled: 1-line block ×3, first 2 shown]
	v_pk_add_f32 v[12:13], v[8:9], v[16:17]
	v_pk_mul_f32 v[16:17], v[74:75], s[18:19] op_sel_hi:[1,0]
	v_pk_add_f32 v[12:13], v[138:139], v[12:13]
	v_pk_fma_f32 v[138:139], v[66:67], s[12:13], v[16:17] op_sel:[0,0,1] op_sel_hi:[1,0,0] neg_lo:[0,0,1] neg_hi:[0,0,1]
	v_pk_fma_f32 v[16:17], v[66:67], s[12:13], v[16:17] op_sel:[0,0,1] op_sel_hi:[1,0,0]
	v_mov_b32_e32 v141, v139
	v_mov_b32_e32 v139, v17
	v_pk_add_f32 v[12:13], v[138:139], v[12:13]
	v_pk_mul_f32 v[138:139], v[68:69], s[20:21] op_sel_hi:[1,0]
	v_mov_b32_e32 v128, v14
	v_pk_fma_f32 v[142:143], v[62:63], s[24:25], v[138:139] op_sel:[0,0,1] op_sel_hi:[1,0,0] neg_lo:[0,0,1] neg_hi:[0,0,1]
	v_pk_fma_f32 v[138:139], v[62:63], s[24:25], v[138:139] op_sel:[0,0,1] op_sel_hi:[1,0,0]
	v_mov_b32_e32 v17, v143
	v_mov_b32_e32 v143, v139
	v_pk_add_f32 v[12:13], v[142:143], v[12:13]
	v_pk_mul_f32 v[142:143], v[64:65], s[14:15] op_sel_hi:[1,0]
	s_mov_b32 s18, 0x3f52af12
	v_pk_fma_f32 v[144:145], v[60:61], s[10:11], v[142:143] op_sel:[0,0,1] op_sel_hi:[1,0,0] neg_lo:[0,0,1] neg_hi:[0,0,1]
	v_pk_fma_f32 v[142:143], v[60:61], s[10:11], v[142:143] op_sel:[0,0,1] op_sel_hi:[1,0,0]
	v_mov_b32_e32 v139, v145
	v_mov_b32_e32 v145, v143
	;; [unrolled: 1-line block ×3, first 2 shown]
	v_pk_add_f32 v[128:129], v[8:9], v[128:129]
	v_pk_add_f32 v[12:13], v[144:145], v[12:13]
	v_pk_mul_f32 v[144:145], v[20:21], s[18:19] op_sel_hi:[1,0]
	v_mov_b32_e32 v126, v130
	v_mov_b32_e32 v130, v132
	;; [unrolled: 1-line block ×3, first 2 shown]
	v_pk_add_f32 v[14:15], v[14:15], v[128:129]
	v_mov_b32_e32 v134, v136
	v_pk_fma_f32 v[146:147], v[18:19], s[12:13], v[144:145] op_sel:[0,0,1] op_sel_hi:[1,0,0] neg_lo:[0,0,1] neg_hi:[0,0,1]
	v_pk_fma_f32 v[144:145], v[18:19], s[12:13], v[144:145] op_sel:[0,0,1] op_sel_hi:[1,0,0]
	v_pk_add_f32 v[14:15], v[126:127], v[14:15]
	v_mov_b32_e32 v136, v140
	v_pk_add_f32 v[126:127], v[8:9], v[134:135]
	v_mov_b32_e32 v148, v146
	v_mov_b32_e32 v149, v145
	;; [unrolled: 1-line block ×3, first 2 shown]
	v_pk_add_f32 v[126:127], v[136:137], v[126:127]
	v_pk_add_f32 v[10:11], v[148:149], v[10:11]
	v_pk_mul_f32 v[148:149], v[20:21], s[26:27] op_sel_hi:[1,0]
	v_mov_b32_e32 v16, v138
	v_pk_add_f32 v[126:127], v[140:141], v[126:127]
	v_pk_fma_f32 v[150:151], v[18:19], s[16:17], v[148:149] op_sel:[0,0,1] op_sel_hi:[1,0,0] neg_lo:[0,0,1] neg_hi:[0,0,1]
	v_pk_fma_f32 v[148:149], v[18:19], s[16:17], v[148:149] op_sel:[0,0,1] op_sel_hi:[1,0,0]
	v_pk_add_f32 v[14:15], v[130:131], v[14:15]
	v_mov_b32_e32 v138, v142
	v_pk_add_f32 v[16:17], v[16:17], v[126:127]
	v_mov_b32_e32 v153, v149
	v_pk_add_f32 v[14:15], v[132:133], v[14:15]
	v_mov_b32_e32 v145, v147
	v_pk_add_f32 v[126:127], v[138:139], v[16:17]
	v_mov_b32_e32 v149, v151
	v_pk_mul_f32 v[80:81], v[80:81], s[30:31] op_sel_hi:[1,0]
	v_pk_add_f32 v[16:17], v[144:145], v[14:15]
	v_pk_add_f32 v[14:15], v[148:149], v[126:127]
	v_pk_fma_f32 v[126:127], v[76:77], s[24:25], v[80:81] op_sel:[0,0,1] op_sel_hi:[1,0,0] neg_lo:[0,0,1] neg_hi:[0,0,1]
	v_pk_fma_f32 v[76:77], v[76:77], s[24:25], v[80:81] op_sel:[0,0,1] op_sel_hi:[1,0,0]
	v_pk_mul_f32 v[78:79], v[78:79], s[14:15] op_sel_hi:[1,0]
	v_pk_mul_f32 v[74:75], v[74:75], s[28:29] op_sel_hi:[1,0]
	;; [unrolled: 1-line block ×4, first 2 shown]
	v_pk_fma_f32 v[80:81], v[72:73], s[10:11], v[78:79] op_sel:[0,0,1] op_sel_hi:[1,0,0] neg_lo:[0,0,1] neg_hi:[0,0,1]
	v_pk_fma_f32 v[72:73], v[72:73], s[10:11], v[78:79] op_sel:[0,0,1] op_sel_hi:[1,0,0]
	v_pk_fma_f32 v[78:79], v[66:67], s[36:37], v[74:75] op_sel:[0,0,1] op_sel_hi:[1,0,0] neg_lo:[0,0,1] neg_hi:[0,0,1]
	v_pk_fma_f32 v[66:67], v[66:67], s[36:37], v[74:75] op_sel:[0,0,1] op_sel_hi:[1,0,0]
	;; [unrolled: 2-line block ×4, first 2 shown]
	v_mov_b32_e32 v64, v126
	v_mov_b32_e32 v65, v77
	;; [unrolled: 1-line block ×4, first 2 shown]
	v_pk_add_f32 v[64:65], v[8:9], v[64:65]
	v_pk_mul_f32 v[20:21], v[20:21], s[34:35] op_sel_hi:[1,0]
	v_pk_add_f32 v[64:65], v[128:129], v[64:65]
	v_mov_b32_e32 v128, v78
	v_mov_b32_e32 v129, v67
	v_pk_add_f32 v[64:65], v[128:129], v[64:65]
	v_mov_b32_e32 v128, v74
	v_mov_b32_e32 v129, v63
	;; [unrolled: 3-line block ×3, first 2 shown]
	v_mov_b32_e32 v77, v127
	v_pk_add_f32 v[64:65], v[128:129], v[64:65]
	v_pk_fma_f32 v[128:129], v[18:19], s[4:5], v[20:21] op_sel:[0,0,1] op_sel_hi:[1,0,0] neg_lo:[0,0,1] neg_hi:[0,0,1]
	v_pk_fma_f32 v[20:21], v[18:19], s[4:5], v[20:21] op_sel:[0,0,1] op_sel_hi:[1,0,0]
	v_mov_b32_e32 v73, v81
	v_pk_add_f32 v[18:19], v[8:9], v[76:77]
	v_mov_b32_e32 v84, v112
	v_mov_b32_e32 v112, v94
	;; [unrolled: 1-line block ×4, first 2 shown]
	v_pk_add_f32 v[56:57], v[8:9], v[118:119]
	v_mov_b32_e32 v67, v79
	v_pk_add_f32 v[18:19], v[72:73], v[18:19]
	v_pk_add_f32 v[56:57], v[84:85], v[56:57]
	v_mov_b32_e32 v63, v75
	v_pk_add_f32 v[18:19], v[66:67], v[18:19]
	;; [unrolled: 3-line block ×4, first 2 shown]
	v_mov_b32_e32 v18, v128
	v_mov_b32_e32 v19, v21
	v_mov_b32_e32 v21, v129
	v_pk_add_f32 v[54:55], v[54:55], v[56:57]
	v_mov_b32_e32 v123, v121
	s_movk_i32 s14, 0x6e
	v_pk_add_f32 v[12:13], v[152:153], v[12:13]
	v_pk_add_f32 v[18:19], v[18:19], v[64:65]
	;; [unrolled: 1-line block ×4, first 2 shown]
	v_cmp_gt_u32_e32 vcc, s14, v26
	s_barrier
	s_and_saveexec_b64 s[14:15], vcc
	s_cbranch_execz .LBB0_21
; %bb.20:
	v_pk_mul_f32 v[52:53], v[52:53], s[10:11]
	v_pk_mul_f32 v[56:57], v[58:59], s[12:13]
	v_pk_add_f32 v[28:29], v[28:29], v[52:53] neg_lo:[0,1] neg_hi:[0,1]
	v_pk_mul_f32 v[58:59], v[70:71], s[4:5]
	v_mov_b32_e32 v87, v83
	v_mov_b32_e32 v31, v29
	v_pk_add_f32 v[28:29], v[32:33], v[56:57] neg_lo:[0,1] neg_hi:[0,1]
	v_pk_mul_f32 v[60:61], v[88:89], s[16:17]
	v_pk_add_f32 v[66:67], v[8:9], v[86:87]
	v_mov_b32_e32 v93, v91
	v_pk_add_f32 v[8:9], v[8:9], v[30:31]
	v_mov_b32_e32 v35, v29
	v_pk_add_f32 v[28:29], v[36:37], v[58:59] neg_lo:[0,1] neg_hi:[0,1]
	v_pk_mul_f32 v[62:63], v[96:97], s[22:23]
	v_pk_add_f32 v[66:67], v[92:93], v[66:67]
	v_mov_b32_e32 v101, v99
	v_pk_add_f32 v[8:9], v[34:35], v[8:9]
	;; [unrolled: 6-line block ×3, first 2 shown]
	v_mov_b32_e32 v43, v29
	v_pk_add_f32 v[28:29], v[44:45], v[62:63] neg_lo:[0,1] neg_hi:[0,1]
	v_pk_add_f32 v[66:67], v[104:105], v[66:67]
	v_mov_b32_e32 v109, v107
	v_pk_add_f32 v[8:9], v[42:43], v[8:9]
	v_mov_b32_e32 v47, v29
	v_pk_add_f32 v[28:29], v[48:49], v[64:65] neg_lo:[0,1] neg_hi:[0,1]
	s_movk_i32 s4, 0x60
	v_pk_add_f32 v[66:67], v[108:109], v[66:67]
	v_mov_b32_e32 v117, v115
	v_pk_add_f32 v[8:9], v[46:47], v[8:9]
	v_mov_b32_e32 v51, v29
	v_mad_u32_u24 v27, v26, s4, v124
	v_pk_add_f32 v[66:67], v[116:117], v[66:67]
	v_pk_add_f32 v[8:9], v[50:51], v[8:9]
	ds_write2_b64 v27, v[0:1], v[2:3] offset1:1
	ds_write2_b64 v27, v[4:5], v[6:7] offset0:2 offset1:3
	ds_write2_b64 v27, v[10:11], v[12:13] offset0:4 offset1:5
	;; [unrolled: 1-line block ×5, first 2 shown]
	ds_write_b64 v27, v[8:9] offset:96
.LBB0_21:
	s_or_b64 exec, exec, s[14:15]
	s_movk_i32 s4, 0x82
	v_cmp_gt_u32_e32 vcc, s4, v26
	s_waitcnt lgkmcnt(0)
	s_barrier
	s_and_saveexec_b64 s[4:5], vcc
	s_cbranch_execz .LBB0_23
; %bb.22:
	v_add_u32_e32 v8, 0x1000, v124
	ds_read2_b64 v[10:13], v8 offset0:8 offset1:138
	v_add_u32_e32 v8, 0x1800, v124
	v_add_u32_e32 v4, 0x800, v124
	ds_read2_b64 v[18:21], v8 offset0:12 offset1:142
	v_add_u32_e32 v8, 0x2000, v124
	ds_read2_b64 v[0:3], v124 offset1:130
	ds_read2_b64 v[4:7], v4 offset0:4 offset1:134
	ds_read2_b64 v[14:17], v8 offset0:16 offset1:146
	ds_read_b64 v[54:55], v124 offset:10400
.LBB0_23:
	s_or_b64 exec, exec, s[4:5]
	s_waitcnt lgkmcnt(0)
	s_barrier
	s_and_saveexec_b64 s[4:5], vcc
	s_cbranch_execz .LBB0_25
; %bb.24:
	s_movk_i32 s10, 0x4f
	v_mul_lo_u16_sdwa v8, v26, s10 dst_sel:DWORD dst_unused:UNUSED_PAD src0_sel:BYTE_0 src1_sel:DWORD
	v_lshrrev_b16_e32 v9, 10, v8
	v_mul_lo_u16_e32 v8, 13, v9
	v_sub_u16_e32 v27, v26, v8
	v_mov_b32_e32 v8, 10
	v_mul_u32_u24_sdwa v8, v27, v8 dst_sel:DWORD dst_unused:UNUSED_PAD src0_sel:BYTE_0 src1_sel:DWORD
	v_lshlrev_b32_e32 v8, 3, v8
	global_load_dwordx4 v[28:31], v8, s[8:9] offset:64
	global_load_dwordx4 v[32:35], v8, s[8:9]
	global_load_dwordx4 v[36:39], v8, s[8:9] offset:48
	global_load_dwordx4 v[40:43], v8, s[8:9] offset:16
	;; [unrolled: 1-line block ×3, first 2 shown]
	v_mov_b32_e32 v8, v3
	v_mov_b32_e32 v48, v5
	;; [unrolled: 1-line block ×4, first 2 shown]
	v_mul_u32_u24_e32 v7, 0x478, v9
	v_lshlrev_b32_sdwa v5, v5, v27 dst_sel:DWORD dst_unused:UNUSED_PAD src0_sel:DWORD src1_sel:BYTE_0
	v_mov_b32_e32 v52, v21
	v_mov_b32_e32 v56, v11
	v_add3_u32 v27, 0, v7, v5
	v_mov_b32_e32 v60, v13
	v_mov_b32_e32 v58, v19
	s_mov_b32 s18, 0x3f575c64
	s_mov_b32 s19, 0xbf0a6770
	;; [unrolled: 1-line block ×32, first 2 shown]
	s_waitcnt vmcnt(4)
	v_pk_mul_f32 v[62:63], v[54:55], v[30:31] op_sel:[1,0]
	s_waitcnt vmcnt(3)
	v_pk_mul_f32 v[64:65], v[2:3], v[32:33] op_sel:[0,1] op_sel_hi:[1,0]
	v_pk_mul_f32 v[8:9], v[8:9], v[32:33] op_sel:[0,1] op_sel_hi:[1,0]
	v_mov_b32_e32 v64, v65
	v_pk_mul_f32 v[66:67], v[16:17], v[28:29] op_sel:[1,0]
	v_pk_mul_f32 v[48:49], v[48:49], v[34:35] op_sel_hi:[0,1]
	s_waitcnt vmcnt(2)
	v_pk_mul_f32 v[68:69], v[14:15], v[38:39] op_sel:[1,0]
	s_waitcnt vmcnt(1)
	v_pk_mul_f32 v[50:51], v[50:51], v[40:41] op_sel_hi:[0,1]
	v_pk_fma_f32 v[70:71], v[2:3], v[32:33], v[8:9] neg_lo:[0,0,1] neg_hi:[0,0,1]
	v_pk_fma_f32 v[8:9], v[54:55], v[30:31], v[62:63] op_sel:[0,0,1] op_sel_hi:[0,1,0] neg_lo:[0,0,1] neg_hi:[0,0,1]
	v_pk_fma_f32 v[32:33], v[2:3], v[32:33], v[64:65] op_sel:[0,1,0] op_sel_hi:[1,0,1]
	v_pk_fma_f32 v[30:31], v[54:55], v[30:31], v[62:63] op_sel:[0,0,1] op_sel_hi:[0,1,0]
	v_pk_fma_f32 v[54:55], v[4:5], v[34:35], v[48:49] op_sel:[0,0,1] op_sel_hi:[1,1,0] neg_lo:[0,0,1] neg_hi:[0,0,1]
	v_pk_fma_f32 v[4:5], v[4:5], v[34:35], v[48:49] op_sel:[0,0,1] op_sel_hi:[0,1,0]
	v_pk_fma_f32 v[34:35], v[16:17], v[28:29], v[66:67] op_sel:[0,0,1] op_sel_hi:[1,1,0] neg_lo:[0,0,1] neg_hi:[0,0,1]
	;; [unrolled: 2-line block ×4, first 2 shown]
	v_pk_fma_f32 v[14:15], v[14:15], v[38:39], v[68:69] op_sel:[0,0,1] op_sel_hi:[0,1,0]
	v_pk_add_f32 v[48:49], v[70:71], v[8:9] neg_lo:[0,1] neg_hi:[0,1]
	v_pk_add_f32 v[50:51], v[70:71], v[8:9]
	v_mov_b32_e32 v71, v32
	v_pk_mul_f32 v[52:53], v[52:53], v[36:37] op_sel_hi:[0,1]
	v_pk_mul_f32 v[56:57], v[56:57], v[42:43] op_sel_hi:[0,1]
	v_mov_b32_e32 v55, v5
	v_mov_b32_e32 v41, v15
	v_pk_add_f32 v[14:15], v[0:1], v[70:71]
	s_waitcnt vmcnt(0)
	v_pk_mul_f32 v[60:61], v[60:61], v[44:45] op_sel_hi:[0,1]
	v_pk_fma_f32 v[38:39], v[10:11], v[42:43], v[56:57] op_sel:[0,0,1] op_sel_hi:[1,1,0] neg_lo:[0,0,1] neg_hi:[0,0,1]
	v_pk_fma_f32 v[10:11], v[10:11], v[42:43], v[56:57] op_sel:[0,0,1] op_sel_hi:[0,1,0]
	v_pk_fma_f32 v[42:43], v[20:21], v[36:37], v[52:53] op_sel:[0,0,1] op_sel_hi:[1,1,0] neg_lo:[0,0,1] neg_hi:[0,0,1]
	v_pk_fma_f32 v[20:21], v[20:21], v[36:37], v[52:53] op_sel:[0,0,1] op_sel_hi:[0,1,0]
	v_mov_b32_e32 v29, v7
	v_pk_add_f32 v[14:15], v[14:15], v[54:55]
	v_pk_mul_f32 v[58:59], v[58:59], v[46:47] op_sel_hi:[0,1]
	v_pk_fma_f32 v[36:37], v[12:13], v[44:45], v[60:61] op_sel:[0,0,1] op_sel_hi:[1,1,0] neg_lo:[0,0,1] neg_hi:[0,0,1]
	v_pk_fma_f32 v[12:13], v[12:13], v[44:45], v[60:61] op_sel:[0,0,1] op_sel_hi:[0,1,0]
	v_mov_b32_e32 v39, v11
	v_mov_b32_e32 v43, v21
	v_pk_add_f32 v[20:21], v[14:15], v[28:29]
	v_pk_fma_f32 v[44:45], v[18:19], v[46:47], v[58:59] op_sel:[0,0,1] op_sel_hi:[1,1,0] neg_lo:[0,0,1] neg_hi:[0,0,1]
	v_pk_fma_f32 v[18:19], v[18:19], v[46:47], v[58:59] op_sel:[0,0,1] op_sel_hi:[0,1,0]
	v_mov_b32_e32 v37, v13
	v_pk_add_f32 v[20:21], v[20:21], v[38:39]
	v_mov_b32_e32 v45, v19
	v_mov_b32_e32 v10, v31
	;; [unrolled: 1-line block ×3, first 2 shown]
	v_pk_add_f32 v[20:21], v[20:21], v[36:37]
	v_pk_add_f32 v[60:61], v[32:33], v[10:11] neg_lo:[0,1] neg_hi:[0,1]
	v_mov_b32_e32 v51, v48
	v_pk_add_f32 v[10:11], v[10:11], v[30:31]
	v_pk_add_f32 v[20:21], v[20:21], v[44:45]
	v_mov_b32_e32 v35, v17
	v_pk_mul_f32 v[12:13], v[50:51], s[18:19]
	v_mov_b32_e32 v10, v60
	v_pk_add_f32 v[20:21], v[20:21], v[42:43]
	v_mov_b32_e32 v46, v8
	v_pk_add_f32 v[8:9], v[54:55], v[34:35]
	v_pk_add_f32 v[18:19], v[54:55], v[34:35] neg_lo:[0,1] neg_hi:[0,1]
	v_pk_fma_f32 v[16:17], v[60:61], s[10:11], v[12:13] neg_lo:[1,0,0] neg_hi:[1,0,0]
	v_pk_fma_f32 v[14:15], v[10:11], s[10:11], v[12:13]
	v_pk_add_f32 v[20:21], v[20:21], v[40:41]
	v_mov_b32_e32 v47, v31
	v_pk_add_f32 v[2:3], v[36:37], v[44:45]
	v_pk_add_f32 v[58:59], v[36:37], v[44:45] neg_lo:[0,1] neg_hi:[0,1]
	v_mov_b32_e32 v17, v15
	v_pk_add_f32 v[20:21], v[20:21], v[34:35]
	v_mov_b32_e32 v36, v8
	v_mov_b32_e32 v37, v18
	v_pk_add_f32 v[34:35], v[20:21], v[46:47]
	v_pk_add_f32 v[20:21], v[0:1], v[16:17]
	v_pk_mul_f32 v[16:17], v[36:37], s[28:29]
	v_mov_b32_e32 v8, v19
	v_pk_add_f32 v[6:7], v[28:29], v[40:41]
	v_pk_add_f32 v[52:53], v[28:29], v[40:41] neg_lo:[0,1] neg_hi:[0,1]
	v_pk_fma_f32 v[28:29], v[8:9], s[12:13], v[16:17] neg_lo:[1,0,0] neg_hi:[1,0,0]
	v_pk_fma_f32 v[18:19], v[8:9], s[12:13], v[16:17]
	v_pk_add_f32 v[4:5], v[38:39], v[42:43]
	v_pk_add_f32 v[56:57], v[38:39], v[42:43] neg_lo:[0,1] neg_hi:[0,1]
	v_mov_b32_e32 v29, v19
	v_mov_b32_e32 v38, v6
	;; [unrolled: 1-line block ×3, first 2 shown]
	v_pk_add_f32 v[30:31], v[28:29], v[20:21]
	v_pk_mul_f32 v[20:21], v[38:39], s[30:31]
	v_mov_b32_e32 v6, v53
	v_pk_fma_f32 v[32:33], v[6:7], s[14:15], v[20:21] neg_lo:[1,0,0] neg_hi:[1,0,0]
	v_pk_fma_f32 v[28:29], v[6:7], s[14:15], v[20:21]
	v_mov_b32_e32 v42, v4
	v_mov_b32_e32 v33, v29
	;; [unrolled: 1-line block ×3, first 2 shown]
	v_pk_add_f32 v[40:41], v[32:33], v[30:31]
	v_pk_mul_f32 v[30:31], v[42:43], s[34:35]
	v_mov_b32_e32 v4, v57
	v_pk_fma_f32 v[44:45], v[4:5], s[16:17], v[30:31] neg_lo:[1,0,0] neg_hi:[1,0,0]
	v_pk_fma_f32 v[32:33], v[4:5], s[16:17], v[30:31]
	v_pk_mul_f32 v[54:55], v[36:37], s[34:35]
	v_mov_b32_e32 v45, v33
	v_pk_add_f32 v[40:41], v[44:45], v[40:41]
	v_mov_b32_e32 v44, v2
	v_mov_b32_e32 v45, v58
	v_pk_mul_f32 v[46:47], v[44:45], s[38:39]
	v_mov_b32_e32 v2, v59
	v_pk_fma_f32 v[48:49], v[2:3], s[20:21], v[46:47] neg_lo:[1,0,0] neg_hi:[1,0,0]
	v_pk_fma_f32 v[52:53], v[2:3], s[20:21], v[46:47]
	v_pk_fma_f32 v[56:57], v[8:9], s[16:17], v[54:55] neg_lo:[1,0,0] neg_hi:[1,0,0]
	v_mov_b32_e32 v49, v53
	v_pk_add_f32 v[40:41], v[48:49], v[40:41]
	ds_write2_b64 v27, v[34:35], v[40:41] offset1:13
	v_pk_mul_f32 v[34:35], v[50:51], s[28:29]
	v_pk_fma_f32 v[58:59], v[8:9], s[16:17], v[54:55]
	v_pk_fma_f32 v[40:41], v[60:61], s[12:13], v[34:35] neg_lo:[1,0,0] neg_hi:[1,0,0]
	v_pk_fma_f32 v[48:49], v[10:11], s[12:13], v[34:35]
	v_mov_b32_e32 v57, v59
	v_mov_b32_e32 v41, v49
	v_pk_add_f32 v[40:41], v[0:1], v[40:41]
	v_pk_mul_f32 v[78:79], v[36:37], s[36:37]
	v_pk_add_f32 v[40:41], v[56:57], v[40:41]
	v_pk_mul_f32 v[56:57], v[38:39], s[36:37]
	v_pk_fma_f32 v[80:81], v[8:9], s[22:23], v[78:79] neg_lo:[1,0,0] neg_hi:[1,0,0]
	v_pk_fma_f32 v[62:63], v[6:7], s[22:23], v[56:57] neg_lo:[1,0,0] neg_hi:[1,0,0]
	v_pk_fma_f32 v[64:65], v[6:7], s[22:23], v[56:57]
	v_pk_fma_f32 v[82:83], v[8:9], s[22:23], v[78:79]
	v_mov_b32_e32 v63, v65
	v_pk_add_f32 v[40:41], v[62:63], v[40:41]
	v_pk_mul_f32 v[62:63], v[42:43], s[40:41]
	v_mov_b32_e32 v81, v83
	v_pk_fma_f32 v[66:67], v[4:5], s[24:25], v[62:63] neg_lo:[1,0,0] neg_hi:[1,0,0]
	v_pk_fma_f32 v[68:69], v[4:5], s[24:25], v[62:63]
	s_mov_b32 s29, 0x3f68dda4
	v_mov_b32_e32 v67, v69
	v_pk_add_f32 v[40:41], v[66:67], v[40:41]
	v_pk_mul_f32 v[66:67], v[44:45], s[42:43]
	s_mov_b32 s36, s29
	v_pk_fma_f32 v[70:71], v[2:3], s[26:27], v[66:67] neg_lo:[1,0,0] neg_hi:[1,0,0]
	v_pk_fma_f32 v[72:73], v[2:3], s[26:27], v[66:67]
	s_mov_b32 s37, s28
	v_mov_b32_e32 v71, v73
	v_pk_add_f32 v[40:41], v[70:71], v[40:41]
	v_pk_mul_f32 v[70:71], v[50:51], s[30:31]
	v_pk_mul_f32 v[96:97], v[36:37], s[40:41]
	v_pk_fma_f32 v[74:75], v[60:61], s[14:15], v[70:71] neg_lo:[1,0,0] neg_hi:[1,0,0]
	v_pk_fma_f32 v[76:77], v[10:11], s[14:15], v[70:71]
	v_pk_fma_f32 v[98:99], v[8:9], s[24:25], v[96:97] neg_lo:[1,0,0] neg_hi:[1,0,0]
	v_mov_b32_e32 v75, v77
	v_pk_add_f32 v[74:75], v[0:1], v[74:75]
	v_pk_fma_f32 v[100:101], v[8:9], s[24:25], v[96:97]
	v_pk_add_f32 v[74:75], v[80:81], v[74:75]
	v_pk_mul_f32 v[80:81], v[38:39], s[28:29]
	v_mov_b32_e32 v99, v101
	v_pk_fma_f32 v[84:85], v[6:7], s[36:37], v[80:81] neg_lo:[1,0,0] neg_hi:[1,0,0]
	v_pk_fma_f32 v[86:87], v[6:7], s[36:37], v[80:81]
	v_pk_mul_f32 v[36:37], v[36:37], s[42:43]
	v_mov_b32_e32 v85, v87
	v_pk_add_f32 v[74:75], v[84:85], v[74:75]
	v_pk_mul_f32 v[84:85], v[42:43], s[18:19]
	v_pk_fma_f32 v[114:115], v[8:9], s[26:27], v[36:37] neg_lo:[1,0,0] neg_hi:[1,0,0]
	v_pk_fma_f32 v[88:89], v[4:5], s[10:11], v[84:85] neg_lo:[1,0,0] neg_hi:[1,0,0]
	v_pk_fma_f32 v[90:91], v[4:5], s[10:11], v[84:85]
	v_pk_fma_f32 v[116:117], v[8:9], s[26:27], v[36:37]
	v_mov_b32_e32 v89, v91
	v_pk_add_f32 v[74:75], v[88:89], v[74:75]
	v_pk_mul_f32 v[88:89], v[44:45], s[34:35]
	v_mov_b32_e32 v115, v117
	v_pk_fma_f32 v[92:93], v[2:3], s[16:17], v[88:89] neg_lo:[1,0,0] neg_hi:[1,0,0]
	v_pk_fma_f32 v[94:95], v[2:3], s[16:17], v[88:89]
	v_pk_fma_f32 v[36:37], v[8:9], s[26:27], v[36:37] neg_lo:[0,0,1] neg_hi:[0,0,1]
	v_mov_b32_e32 v93, v95
	v_pk_add_f32 v[74:75], v[92:93], v[74:75]
	ds_write2_b64 v27, v[40:41], v[74:75] offset0:26 offset1:39
	v_pk_mul_f32 v[40:41], v[50:51], s[34:35]
	v_pk_mul_f32 v[50:51], v[50:51], s[38:39]
	v_pk_fma_f32 v[74:75], v[60:61], s[16:17], v[40:41] neg_lo:[1,0,0] neg_hi:[1,0,0]
	v_pk_fma_f32 v[92:93], v[10:11], s[16:17], v[40:41]
	v_pk_fma_f32 v[60:61], v[60:61], s[20:21], v[50:51] neg_lo:[1,0,0] neg_hi:[1,0,0]
	v_mov_b32_e32 v75, v93
	v_pk_add_f32 v[74:75], v[0:1], v[74:75]
	v_mov_b32_e32 v117, v37
	v_pk_add_f32 v[74:75], v[98:99], v[74:75]
	v_pk_mul_f32 v[98:99], v[38:39], s[18:19]
	v_pk_mul_f32 v[38:39], v[38:39], s[34:35]
	v_pk_fma_f32 v[102:103], v[6:7], s[10:11], v[98:99] neg_lo:[1,0,0] neg_hi:[1,0,0]
	v_pk_fma_f32 v[104:105], v[6:7], s[10:11], v[98:99]
	v_pk_fma_f32 v[118:119], v[6:7], s[16:17], v[38:39]
	v_mov_b32_e32 v103, v105
	v_pk_add_f32 v[74:75], v[102:103], v[74:75]
	v_pk_mul_f32 v[102:103], v[42:43], s[38:39]
	v_pk_mul_f32 v[42:43], v[42:43], s[28:29]
	v_pk_fma_f32 v[106:107], v[4:5], s[20:21], v[102:103] neg_lo:[1,0,0] neg_hi:[1,0,0]
	v_pk_fma_f32 v[108:109], v[4:5], s[20:21], v[102:103]
	v_pk_fma_f32 v[120:121], v[4:5], s[36:37], v[42:43]
	;; [unrolled: 7-line block ×3, first 2 shown]
	v_mov_b32_e32 v111, v113
	v_pk_add_f32 v[74:75], v[110:111], v[74:75]
	v_pk_fma_f32 v[110:111], v[10:11], s[20:21], v[50:51]
	v_pk_fma_f32 v[50:51], v[10:11], s[20:21], v[50:51] neg_lo:[0,0,1] neg_hi:[0,0,1]
	v_mov_b32_e32 v61, v111
	v_pk_add_f32 v[60:61], v[0:1], v[60:61]
	v_mov_b32_e32 v111, v51
	v_pk_add_f32 v[60:61], v[114:115], v[60:61]
	v_pk_fma_f32 v[114:115], v[6:7], s[16:17], v[38:39] neg_lo:[1,0,0] neg_hi:[1,0,0]
	v_pk_fma_f32 v[38:39], v[6:7], s[16:17], v[38:39] neg_lo:[0,0,1] neg_hi:[0,0,1]
	v_mov_b32_e32 v115, v119
	v_pk_add_f32 v[60:61], v[114:115], v[60:61]
	v_pk_fma_f32 v[114:115], v[4:5], s[36:37], v[42:43] neg_lo:[1,0,0] neg_hi:[1,0,0]
	v_mov_b32_e32 v119, v39
	v_mov_b32_e32 v115, v121
	v_pk_fma_f32 v[38:39], v[4:5], s[36:37], v[42:43] neg_lo:[0,0,1] neg_hi:[0,0,1]
	v_pk_add_f32 v[60:61], v[114:115], v[60:61]
	v_pk_fma_f32 v[114:115], v[2:3], s[14:15], v[44:45] neg_lo:[1,0,0] neg_hi:[1,0,0]
	v_mov_b32_e32 v121, v39
	v_pk_fma_f32 v[38:39], v[2:3], s[14:15], v[44:45] neg_lo:[0,0,1] neg_hi:[0,0,1]
	v_mov_b32_e32 v115, v123
	v_mov_b32_e32 v123, v39
	v_pk_fma_f32 v[38:39], v[10:11], s[16:17], v[40:41] neg_lo:[0,0,1] neg_hi:[0,0,1]
	v_pk_fma_f32 v[40:41], v[8:9], s[24:25], v[96:97] neg_lo:[0,0,1] neg_hi:[0,0,1]
	v_mov_b32_e32 v93, v39
	v_pk_add_f32 v[50:51], v[0:1], v[110:111]
	v_pk_add_f32 v[38:39], v[0:1], v[92:93]
	v_mov_b32_e32 v101, v41
	v_pk_fma_f32 v[40:41], v[6:7], s[10:11], v[98:99] neg_lo:[0,0,1] neg_hi:[0,0,1]
	v_pk_add_f32 v[36:37], v[116:117], v[50:51]
	v_pk_add_f32 v[38:39], v[100:101], v[38:39]
	v_mov_b32_e32 v105, v41
	v_pk_fma_f32 v[40:41], v[4:5], s[20:21], v[102:103] neg_lo:[0,0,1] neg_hi:[0,0,1]
	;; [unrolled: 4-line block ×3, first 2 shown]
	v_pk_add_f32 v[36:37], v[120:121], v[36:37]
	v_pk_add_f32 v[38:39], v[108:109], v[38:39]
	v_mov_b32_e32 v113, v41
	v_pk_add_f32 v[36:37], v[122:123], v[36:37]
	v_pk_add_f32 v[38:39], v[112:113], v[38:39]
	ds_write2_b64 v27, v[36:37], v[38:39] offset0:78 offset1:91
	v_pk_fma_f32 v[38:39], v[8:9], s[22:23], v[78:79] neg_lo:[0,0,1] neg_hi:[0,0,1]
	v_pk_fma_f32 v[36:37], v[10:11], s[14:15], v[70:71] neg_lo:[0,0,1] neg_hi:[0,0,1]
	v_mov_b32_e32 v83, v39
	v_pk_fma_f32 v[38:39], v[6:7], s[36:37], v[80:81] neg_lo:[0,0,1] neg_hi:[0,0,1]
	v_pk_fma_f32 v[34:35], v[10:11], s[12:13], v[34:35] neg_lo:[0,0,1] neg_hi:[0,0,1]
	v_mov_b32_e32 v87, v39
	;; [unrolled: 3-line block ×3, first 2 shown]
	v_pk_fma_f32 v[38:39], v[2:3], s[16:17], v[88:89] neg_lo:[0,0,1] neg_hi:[0,0,1]
	v_mov_b32_e32 v77, v37
	v_mov_b32_e32 v95, v39
	v_mov_b32_e32 v49, v35
	v_pk_fma_f32 v[38:39], v[8:9], s[16:17], v[54:55] neg_lo:[0,0,1] neg_hi:[0,0,1]
	v_mov_b32_e32 v15, v11
	v_pk_fma_f32 v[8:9], v[8:9], s[12:13], v[16:17] neg_lo:[0,0,1] neg_hi:[0,0,1]
	v_pk_add_f32 v[36:37], v[0:1], v[76:77]
	v_pk_add_f32 v[34:35], v[0:1], v[48:49]
	v_mov_b32_e32 v59, v39
	v_pk_fma_f32 v[38:39], v[6:7], s[22:23], v[56:57] neg_lo:[0,0,1] neg_hi:[0,0,1]
	v_pk_add_f32 v[0:1], v[0:1], v[14:15]
	v_mov_b32_e32 v19, v9
	v_pk_fma_f32 v[6:7], v[6:7], s[14:15], v[20:21] neg_lo:[0,0,1] neg_hi:[0,0,1]
	v_pk_add_f32 v[36:37], v[82:83], v[36:37]
	v_pk_add_f32 v[34:35], v[58:59], v[34:35]
	v_mov_b32_e32 v65, v39
	v_pk_fma_f32 v[38:39], v[4:5], s[24:25], v[62:63] neg_lo:[0,0,1] neg_hi:[0,0,1]
	v_pk_add_f32 v[0:1], v[18:19], v[0:1]
	v_mov_b32_e32 v29, v7
	v_pk_fma_f32 v[4:5], v[4:5], s[16:17], v[30:31] neg_lo:[0,0,1] neg_hi:[0,0,1]
	v_pk_add_f32 v[36:37], v[86:87], v[36:37]
	v_pk_add_f32 v[34:35], v[64:65], v[34:35]
	v_mov_b32_e32 v69, v39
	v_pk_fma_f32 v[38:39], v[2:3], s[26:27], v[66:67] neg_lo:[0,0,1] neg_hi:[0,0,1]
	v_pk_add_f32 v[0:1], v[28:29], v[0:1]
	v_mov_b32_e32 v33, v5
	v_pk_fma_f32 v[2:3], v[2:3], s[20:21], v[46:47] neg_lo:[0,0,1] neg_hi:[0,0,1]
	v_pk_add_f32 v[36:37], v[90:91], v[36:37]
	v_pk_add_f32 v[34:35], v[68:69], v[34:35]
	v_mov_b32_e32 v73, v39
	v_pk_add_f32 v[0:1], v[32:33], v[0:1]
	v_mov_b32_e32 v53, v3
	v_pk_add_f32 v[60:61], v[114:115], v[60:61]
	v_pk_add_f32 v[36:37], v[94:95], v[36:37]
	;; [unrolled: 1-line block ×4, first 2 shown]
	ds_write2_b64 v27, v[74:75], v[60:61] offset0:52 offset1:65
	ds_write2_b64 v27, v[36:37], v[34:35] offset0:104 offset1:117
	ds_write_b64 v27, v[0:1] offset:1040
.LBB0_25:
	s_or_b64 exec, exec, s[4:5]
	v_mul_u32_u24_e32 v0, 9, v26
	v_lshlrev_b32_e32 v16, 3, v0
	s_waitcnt lgkmcnt(0)
	s_barrier
	global_load_dwordx4 v[0:3], v16, s[8:9] offset:1040
	global_load_dwordx4 v[4:7], v16, s[8:9] offset:1056
	;; [unrolled: 1-line block ×4, first 2 shown]
	global_load_dwordx2 v[20:21], v16, s[8:9] offset:1104
	v_add_u32_e32 v27, 0x800, v124
	ds_read2_b64 v[16:19], v124 offset1:143
	v_add_u32_e32 v59, 0x1000, v124
	v_add_u32_e32 v64, 0x1800, v124
	;; [unrolled: 1-line block ×3, first 2 shown]
	ds_read2_b64 v[28:31], v27 offset0:30 offset1:173
	ds_read2_b64 v[32:35], v59 offset0:60 offset1:203
	;; [unrolled: 1-line block ×4, first 2 shown]
	s_mov_b32 s8, 0x3f737871
	s_mov_b32 s4, 0x3f167918
	;; [unrolled: 1-line block ×4, first 2 shown]
	s_waitcnt lgkmcnt(0)
	s_barrier
	s_mov_b32 s14, 0xbf737871
	s_mov_b32 s15, s8
	s_waitcnt vmcnt(4)
	v_pk_mul_f32 v[44:45], v[0:1], v[18:19] op_sel:[0,1]
	v_pk_mul_f32 v[46:47], v[2:3], v[28:29] op_sel:[0,1]
	s_waitcnt vmcnt(3)
	v_pk_mul_f32 v[48:49], v[4:5], v[30:31] op_sel:[0,1]
	v_pk_mul_f32 v[50:51], v[6:7], v[32:33] op_sel:[0,1]
	s_waitcnt vmcnt(2)
	v_pk_mul_f32 v[52:53], v[8:9], v[34:35] op_sel:[0,1]
	s_waitcnt vmcnt(1)
	;; [unrolled: 2-line block ×3, first 2 shown]
	v_pk_mul_f32 v[60:61], v[42:43], v[20:21] op_sel:[0,1]
	v_mov_b32_e32 v54, v11
	v_pk_fma_f32 v[62:63], v[0:1], v[18:19], v[44:45] op_sel:[0,0,1] op_sel_hi:[1,1,0] neg_lo:[0,0,1] neg_hi:[0,0,1]
	v_pk_fma_f32 v[0:1], v[0:1], v[18:19], v[44:45] op_sel:[0,0,1] op_sel_hi:[1,0,0]
	v_pk_fma_f32 v[18:19], v[2:3], v[28:29], v[46:47] op_sel:[0,0,1] op_sel_hi:[1,1,0] neg_lo:[0,0,1] neg_hi:[0,0,1]
	v_pk_fma_f32 v[2:3], v[2:3], v[28:29], v[46:47] op_sel:[0,0,1] op_sel_hi:[1,0,0]
	;; [unrolled: 2-line block ×7, first 2 shown]
	v_mov_b32_e32 v58, v15
	v_pk_mul_f32 v[34:35], v[36:37], v[54:55] op_sel_hi:[1,0]
	v_mov_b32_e32 v29, v5
	v_mov_b32_e32 v33, v9
	;; [unrolled: 1-line block ×4, first 2 shown]
	v_pk_mul_f32 v[38:39], v[40:41], v[58:59] op_sel_hi:[1,0]
	v_mov_b32_e32 v63, v1
	v_mov_b32_e32 v19, v3
	v_pk_fma_f32 v[0:1], v[36:37], v[10:11], v[34:35] op_sel:[0,0,1] op_sel_hi:[1,1,0] neg_lo:[0,0,1] neg_hi:[0,0,1]
	v_pk_fma_f32 v[2:3], v[36:37], v[10:11], v[34:35] op_sel:[0,0,1] op_sel_hi:[1,0,0]
	v_pk_add_f32 v[10:11], v[32:33], v[44:45]
	v_pk_add_f32 v[12:13], v[28:29], v[46:47] neg_lo:[0,1] neg_hi:[0,1]
	v_mov_b32_e32 v31, v7
	v_pk_fma_f32 v[4:5], v[40:41], v[14:15], v[38:39] op_sel:[0,0,1] op_sel_hi:[1,1,0] neg_lo:[0,0,1] neg_hi:[0,0,1]
	v_pk_fma_f32 v[6:7], v[40:41], v[14:15], v[38:39] op_sel:[0,0,1] op_sel_hi:[1,0,0]
	v_pk_fma_f32 v[10:11], v[10:11], 0.5, v[62:63] op_sel_hi:[1,0,1] neg_lo:[1,0,0] neg_hi:[1,0,0]
	v_pk_mul_f32 v[38:39], v[12:13], s[8:9] op_sel_hi:[1,0]
	v_pk_add_f32 v[48:49], v[32:33], v[44:45] neg_lo:[0,1] neg_hi:[0,1]
	v_pk_add_f32 v[52:53], v[28:29], v[32:33] neg_lo:[0,1] neg_hi:[0,1]
	;; [unrolled: 1-line block ×3, first 2 shown]
	v_mov_b32_e32 v1, v3
	v_mov_b32_e32 v5, v7
	v_pk_mul_f32 v[50:51], v[48:49], s[4:5] op_sel_hi:[1,0]
	v_pk_add_f32 v[52:53], v[52:53], v[54:55]
	v_pk_add_f32 v[54:55], v[10:11], v[38:39] op_sel:[0,1] op_sel_hi:[1,0]
	v_pk_add_f32 v[10:11], v[10:11], v[38:39] op_sel:[0,1] op_sel_hi:[1,0] neg_lo:[0,1] neg_hi:[0,1]
	v_pk_add_f32 v[14:15], v[30:31], v[0:1]
	v_pk_add_f32 v[20:21], v[18:19], v[4:5] neg_lo:[0,1] neg_hi:[0,1]
	v_pk_add_f32 v[10:11], v[10:11], v[50:51] op_sel:[0,1] op_sel_hi:[1,0] neg_lo:[0,1] neg_hi:[0,1]
	v_pk_add_f32 v[38:39], v[54:55], v[50:51] op_sel:[0,1] op_sel_hi:[1,0]
	v_pk_add_f32 v[8:9], v[18:19], v[30:31] neg_lo:[0,1] neg_hi:[0,1]
	v_pk_add_f32 v[34:35], v[30:31], v[0:1] neg_lo:[0,1] neg_hi:[0,1]
	;; [unrolled: 1-line block ×3, first 2 shown]
	v_pk_fma_f32 v[14:15], v[14:15], 0.5, v[16:17] op_sel_hi:[1,0,1] neg_lo:[1,0,0] neg_hi:[1,0,0]
	v_pk_mul_f32 v[40:41], v[20:21], s[8:9] op_sel_hi:[1,0]
	v_mov_b32_e32 v50, v38
	v_mov_b32_e32 v51, v11
	v_pk_add_f32 v[2:3], v[16:17], v[18:19]
	v_pk_add_f32 v[6:7], v[62:63], v[28:29]
	v_pk_mul_f32 v[42:43], v[34:35], s[4:5] op_sel_hi:[1,0]
	v_pk_add_f32 v[8:9], v[8:9], v[36:37]
	v_pk_add_f32 v[36:37], v[14:15], v[40:41] op_sel:[0,1] op_sel_hi:[1,0]
	v_pk_add_f32 v[14:15], v[14:15], v[40:41] op_sel:[0,1] op_sel_hi:[1,0] neg_lo:[0,1] neg_hi:[0,1]
	v_pk_fma_f32 v[50:51], v[52:53], s[10:11], v[50:51] op_sel_hi:[1,0,1]
	v_pk_add_f32 v[2:3], v[2:3], v[30:31]
	v_pk_add_f32 v[6:7], v[6:7], v[32:33]
	v_pk_add_f32 v[14:15], v[14:15], v[42:43] op_sel:[0,1] op_sel_hi:[1,0] neg_lo:[0,1] neg_hi:[0,1]
	v_pk_add_f32 v[36:37], v[36:37], v[42:43] op_sel:[0,1] op_sel_hi:[1,0]
	v_pk_mul_f32 v[54:55], v[50:51], s[4:5] op_sel_hi:[1,0]
	v_pk_add_f32 v[2:3], v[2:3], v[0:1]
	v_pk_add_f32 v[6:7], v[6:7], v[44:45]
	v_mov_b32_e32 v42, v36
	v_mov_b32_e32 v43, v15
	v_pk_fma_f32 v[56:57], v[50:51], s[12:13], v[54:55] op_sel:[0,0,1] op_sel_hi:[1,0,0]
	v_pk_fma_f32 v[50:51], v[50:51], s[12:13], v[54:55] op_sel:[0,0,1] op_sel_hi:[1,0,0] neg_lo:[0,0,1] neg_hi:[0,0,1]
	v_pk_add_f32 v[2:3], v[2:3], v[4:5]
	v_pk_add_f32 v[6:7], v[6:7], v[46:47]
	v_pk_fma_f32 v[42:43], v[8:9], s[10:11], v[42:43] op_sel_hi:[1,0,1]
	v_mov_b32_e32 v57, v51
	v_pk_add_f32 v[40:41], v[2:3], v[6:7]
	v_pk_add_f32 v[50:51], v[42:43], v[56:57]
	ds_write2_b64 v124, v[40:41], v[50:51] offset1:143
	v_pk_add_f32 v[40:41], v[18:19], v[4:5]
	v_pk_add_f32 v[18:19], v[30:31], v[18:19] neg_lo:[0,1] neg_hi:[0,1]
	v_pk_add_f32 v[0:1], v[0:1], v[4:5] neg_lo:[0,1] neg_hi:[0,1]
	v_pk_add_f32 v[4:5], v[28:29], v[46:47]
	v_pk_add_f32 v[0:1], v[18:19], v[0:1]
	v_pk_add_f32 v[18:19], v[32:33], v[28:29] neg_lo:[0,1] neg_hi:[0,1]
	v_pk_add_f32 v[28:29], v[44:45], v[46:47] neg_lo:[0,1] neg_hi:[0,1]
	v_pk_fma_f32 v[16:17], v[40:41], 0.5, v[16:17] op_sel_hi:[1,0,1] neg_lo:[1,0,0] neg_hi:[1,0,0]
	v_pk_add_f32 v[18:19], v[18:19], v[28:29]
	v_pk_mul_f32 v[28:29], v[34:35], s[8:9] op_sel_hi:[1,0]
	v_pk_mul_f32 v[20:21], v[20:21], s[4:5] op_sel_hi:[1,0]
	v_pk_add_f32 v[30:31], v[16:17], v[28:29] op_sel:[0,1] op_sel_hi:[1,0] neg_lo:[0,1] neg_hi:[0,1]
	v_pk_add_f32 v[16:17], v[16:17], v[28:29] op_sel:[0,1] op_sel_hi:[1,0]
	v_pk_fma_f32 v[4:5], v[4:5], 0.5, v[62:63] op_sel_hi:[1,0,1] neg_lo:[1,0,0] neg_hi:[1,0,0]
	v_pk_add_f32 v[16:17], v[16:17], v[20:21] op_sel:[0,1] op_sel_hi:[1,0] neg_lo:[0,1] neg_hi:[0,1]
	v_pk_add_f32 v[20:21], v[30:31], v[20:21] op_sel:[0,1] op_sel_hi:[1,0]
	v_pk_mul_f32 v[30:31], v[48:49], s[8:9] op_sel_hi:[1,0]
	v_pk_mul_f32 v[12:13], v[12:13], s[4:5] op_sel_hi:[1,0]
	v_pk_add_f32 v[32:33], v[4:5], v[30:31] op_sel:[0,1] op_sel_hi:[1,0] neg_lo:[0,1] neg_hi:[0,1]
	v_pk_add_f32 v[4:5], v[4:5], v[30:31] op_sel:[0,1] op_sel_hi:[1,0]
	v_mov_b32_e32 v28, v20
	v_pk_add_f32 v[4:5], v[4:5], v[12:13] op_sel:[0,1] op_sel_hi:[1,0] neg_lo:[0,1] neg_hi:[0,1]
	v_pk_add_f32 v[12:13], v[32:33], v[12:13] op_sel:[0,1] op_sel_hi:[1,0]
	v_mov_b32_e32 v31, v5
	v_mov_b32_e32 v30, v12
	v_pk_fma_f32 v[30:31], v[18:19], s[10:11], v[30:31] op_sel_hi:[1,0,1]
	v_mov_b32_e32 v5, v13
	v_pk_mul_f32 v[32:33], v[30:31], s[8:9] op_sel_hi:[1,0]
	v_pk_fma_f32 v[4:5], v[18:19], s[10:11], v[4:5] op_sel_hi:[1,0,1]
	v_mov_b32_e32 v29, v17
	v_pk_fma_f32 v[34:35], v[30:31], s[10:11], v[32:33] op_sel:[0,0,1] op_sel_hi:[1,0,0]
	v_pk_fma_f32 v[30:31], v[30:31], s[10:11], v[32:33] op_sel:[0,0,1] op_sel_hi:[1,0,0] neg_lo:[0,0,1] neg_hi:[0,0,1]
	v_mov_b32_e32 v17, v21
	v_pk_mul_f32 v[12:13], v[4:5], s[10:11] op_sel_hi:[1,0]
	v_pk_fma_f32 v[28:29], v[0:1], s[10:11], v[28:29] op_sel_hi:[1,0,1]
	v_mov_b32_e32 v35, v31
	v_pk_fma_f32 v[0:1], v[0:1], s[10:11], v[16:17] op_sel_hi:[1,0,1]
	v_pk_fma_f32 v[4:5], v[4:5], s[14:15], v[12:13] op_sel:[0,0,1] op_sel_hi:[1,1,0] neg_lo:[0,0,1] neg_hi:[0,0,1]
	v_mov_b32_e32 v11, v39
	v_pk_add_f32 v[30:31], v[28:29], v[34:35]
	v_pk_add_f32 v[12:13], v[0:1], v[4:5] op_sel:[0,1] op_sel_hi:[1,0]
	v_pk_fma_f32 v[10:11], v[52:53], s[10:11], v[10:11] op_sel_hi:[1,0,1]
	ds_write2_b64 v27, v[30:31], v[12:13] offset0:30 offset1:173
	v_mov_b32_e32 v15, v37
	s_mov_b32 s8, 0xbf167918
	s_mov_b32 s9, s4
	v_pk_mul_f32 v[12:13], v[10:11], s[12:13] op_sel_hi:[1,0]
	v_pk_fma_f32 v[8:9], v[8:9], s[10:11], v[14:15] op_sel_hi:[1,0,1]
	v_pk_fma_f32 v[10:11], v[10:11], s[8:9], v[12:13] op_sel:[0,0,1] op_sel_hi:[1,1,0] neg_lo:[0,0,1] neg_hi:[0,0,1]
	v_pk_add_f32 v[2:3], v[2:3], v[6:7] neg_lo:[0,1] neg_hi:[0,1]
	v_pk_add_f32 v[12:13], v[8:9], v[10:11] op_sel:[0,1] op_sel_hi:[1,0]
	ds_write2_b64 v59, v[12:13], v[2:3] offset0:60 offset1:203
	v_pk_add_f32 v[2:3], v[42:43], v[56:57] neg_lo:[0,1] neg_hi:[0,1]
	v_pk_add_f32 v[6:7], v[28:29], v[34:35] neg_lo:[0,1] neg_hi:[0,1]
	ds_write2_b64 v64, v[2:3], v[6:7] offset0:90 offset1:233
	v_pk_add_f32 v[0:1], v[0:1], v[4:5] op_sel:[0,1] op_sel_hi:[1,0] neg_lo:[0,1] neg_hi:[0,1]
	v_pk_add_f32 v[2:3], v[8:9], v[10:11] op_sel:[0,1] op_sel_hi:[1,0] neg_lo:[0,1] neg_hi:[0,1]
	ds_write2_b64 v65, v[0:1], v[2:3] offset0:56 offset1:199
	s_waitcnt lgkmcnt(0)
	s_barrier
	s_and_saveexec_b64 s[4:5], s[0:1]
	s_cbranch_execz .LBB0_27
; %bb.26:
	v_mul_lo_u32 v0, s3, v24
	v_mul_lo_u32 v1, s2, v25
	v_mad_u64_u32 v[4:5], s[0:1], s2, v24, 0
	v_lshl_add_u32 v10, v26, 3, 0
	v_add3_u32 v5, v5, v1, v0
	ds_read2_b64 v[0:3], v10 offset1:143
	v_lshl_add_u64 v[4:5], v[4:5], 3, s[6:7]
	v_mov_b32_e32 v27, 0
	v_lshl_add_u64 v[8:9], v[22:23], 3, v[4:5]
	v_lshl_add_u64 v[4:5], v[26:27], 3, v[8:9]
	s_waitcnt lgkmcnt(0)
	global_store_dwordx2 v[4:5], v[0:1], off
	v_add_u32_e32 v4, 0x800, v10
	ds_read2_b64 v[4:7], v4 offset0:30 offset1:173
	v_add_u32_e32 v0, 0x8f, v26
	v_mov_b32_e32 v1, v27
	v_lshl_add_u64 v[0:1], v[0:1], 3, v[8:9]
	global_store_dwordx2 v[0:1], v[2:3], off
	v_add_u32_e32 v0, 0x11e, v26
	v_mov_b32_e32 v1, v27
	v_lshl_add_u64 v[0:1], v[0:1], 3, v[8:9]
	s_waitcnt lgkmcnt(0)
	global_store_dwordx2 v[0:1], v[4:5], off
	v_add_u32_e32 v0, 0x1ad, v26
	v_mov_b32_e32 v1, v27
	v_lshl_add_u64 v[4:5], v[0:1], 3, v[8:9]
	v_add_u32_e32 v0, 0x1000, v10
	ds_read2_b64 v[0:3], v0 offset0:60 offset1:203
	global_store_dwordx2 v[4:5], v[6:7], off
	v_add_u32_e32 v4, 0x23c, v26
	v_mov_b32_e32 v5, v27
	v_lshl_add_u64 v[4:5], v[4:5], 3, v[8:9]
	s_waitcnt lgkmcnt(0)
	global_store_dwordx2 v[4:5], v[0:1], off
	v_add_u32_e32 v4, 0x1800, v10
	ds_read2_b64 v[4:7], v4 offset0:90 offset1:233
	v_add_u32_e32 v0, 0x2cb, v26
	v_mov_b32_e32 v1, v27
	v_lshl_add_u64 v[0:1], v[0:1], 3, v[8:9]
	global_store_dwordx2 v[0:1], v[2:3], off
	v_add_u32_e32 v0, 0x35a, v26
	v_mov_b32_e32 v1, v27
	v_lshl_add_u64 v[0:1], v[0:1], 3, v[8:9]
	s_waitcnt lgkmcnt(0)
	global_store_dwordx2 v[0:1], v[4:5], off
	v_add_u32_e32 v0, 0x3e9, v26
	v_mov_b32_e32 v1, v27
	v_lshl_add_u64 v[4:5], v[0:1], 3, v[8:9]
	v_add_u32_e32 v0, 0x2200, v10
	ds_read2_b64 v[0:3], v0 offset0:56 offset1:199
	global_store_dwordx2 v[4:5], v[6:7], off
	v_add_u32_e32 v4, 0x478, v26
	v_mov_b32_e32 v5, v27
	v_lshl_add_u64 v[4:5], v[4:5], 3, v[8:9]
	v_add_u32_e32 v26, 0x507, v26
	s_waitcnt lgkmcnt(0)
	global_store_dwordx2 v[4:5], v[0:1], off
	v_lshl_add_u64 v[0:1], v[26:27], 3, v[8:9]
	global_store_dwordx2 v[0:1], v[2:3], off
.LBB0_27:
	s_endpgm
	.section	.rodata,"a",@progbits
	.p2align	6, 0x0
	.amdhsa_kernel fft_rtc_fwd_len1430_factors_13_11_10_wgs_143_tpt_143_sp_op_CI_CI_unitstride_sbrr_C2R_dirReg
		.amdhsa_group_segment_fixed_size 0
		.amdhsa_private_segment_fixed_size 0
		.amdhsa_kernarg_size 104
		.amdhsa_user_sgpr_count 2
		.amdhsa_user_sgpr_dispatch_ptr 0
		.amdhsa_user_sgpr_queue_ptr 0
		.amdhsa_user_sgpr_kernarg_segment_ptr 1
		.amdhsa_user_sgpr_dispatch_id 0
		.amdhsa_user_sgpr_kernarg_preload_length 0
		.amdhsa_user_sgpr_kernarg_preload_offset 0
		.amdhsa_user_sgpr_private_segment_size 0
		.amdhsa_uses_dynamic_stack 0
		.amdhsa_enable_private_segment 0
		.amdhsa_system_sgpr_workgroup_id_x 1
		.amdhsa_system_sgpr_workgroup_id_y 0
		.amdhsa_system_sgpr_workgroup_id_z 0
		.amdhsa_system_sgpr_workgroup_info 0
		.amdhsa_system_vgpr_workitem_id 0
		.amdhsa_next_free_vgpr 154
		.amdhsa_next_free_sgpr 44
		.amdhsa_accum_offset 156
		.amdhsa_reserve_vcc 1
		.amdhsa_float_round_mode_32 0
		.amdhsa_float_round_mode_16_64 0
		.amdhsa_float_denorm_mode_32 3
		.amdhsa_float_denorm_mode_16_64 3
		.amdhsa_dx10_clamp 1
		.amdhsa_ieee_mode 1
		.amdhsa_fp16_overflow 0
		.amdhsa_tg_split 0
		.amdhsa_exception_fp_ieee_invalid_op 0
		.amdhsa_exception_fp_denorm_src 0
		.amdhsa_exception_fp_ieee_div_zero 0
		.amdhsa_exception_fp_ieee_overflow 0
		.amdhsa_exception_fp_ieee_underflow 0
		.amdhsa_exception_fp_ieee_inexact 0
		.amdhsa_exception_int_div_zero 0
	.end_amdhsa_kernel
	.text
.Lfunc_end0:
	.size	fft_rtc_fwd_len1430_factors_13_11_10_wgs_143_tpt_143_sp_op_CI_CI_unitstride_sbrr_C2R_dirReg, .Lfunc_end0-fft_rtc_fwd_len1430_factors_13_11_10_wgs_143_tpt_143_sp_op_CI_CI_unitstride_sbrr_C2R_dirReg
                                        ; -- End function
	.section	.AMDGPU.csdata,"",@progbits
; Kernel info:
; codeLenInByte = 9272
; NumSgprs: 50
; NumVgprs: 154
; NumAgprs: 0
; TotalNumVgprs: 154
; ScratchSize: 0
; MemoryBound: 0
; FloatMode: 240
; IeeeMode: 1
; LDSByteSize: 0 bytes/workgroup (compile time only)
; SGPRBlocks: 6
; VGPRBlocks: 19
; NumSGPRsForWavesPerEU: 50
; NumVGPRsForWavesPerEU: 154
; AccumOffset: 156
; Occupancy: 3
; WaveLimiterHint : 1
; COMPUTE_PGM_RSRC2:SCRATCH_EN: 0
; COMPUTE_PGM_RSRC2:USER_SGPR: 2
; COMPUTE_PGM_RSRC2:TRAP_HANDLER: 0
; COMPUTE_PGM_RSRC2:TGID_X_EN: 1
; COMPUTE_PGM_RSRC2:TGID_Y_EN: 0
; COMPUTE_PGM_RSRC2:TGID_Z_EN: 0
; COMPUTE_PGM_RSRC2:TIDIG_COMP_CNT: 0
; COMPUTE_PGM_RSRC3_GFX90A:ACCUM_OFFSET: 38
; COMPUTE_PGM_RSRC3_GFX90A:TG_SPLIT: 0
	.text
	.p2alignl 6, 3212836864
	.fill 256, 4, 3212836864
	.type	__hip_cuid_df1e861f770ac4e6,@object ; @__hip_cuid_df1e861f770ac4e6
	.section	.bss,"aw",@nobits
	.globl	__hip_cuid_df1e861f770ac4e6
__hip_cuid_df1e861f770ac4e6:
	.byte	0                               ; 0x0
	.size	__hip_cuid_df1e861f770ac4e6, 1

	.ident	"AMD clang version 19.0.0git (https://github.com/RadeonOpenCompute/llvm-project roc-6.4.0 25133 c7fe45cf4b819c5991fe208aaa96edf142730f1d)"
	.section	".note.GNU-stack","",@progbits
	.addrsig
	.addrsig_sym __hip_cuid_df1e861f770ac4e6
	.amdgpu_metadata
---
amdhsa.kernels:
  - .agpr_count:     0
    .args:
      - .actual_access:  read_only
        .address_space:  global
        .offset:         0
        .size:           8
        .value_kind:     global_buffer
      - .offset:         8
        .size:           8
        .value_kind:     by_value
      - .actual_access:  read_only
        .address_space:  global
        .offset:         16
        .size:           8
        .value_kind:     global_buffer
      - .actual_access:  read_only
        .address_space:  global
        .offset:         24
        .size:           8
        .value_kind:     global_buffer
      - .actual_access:  read_only
        .address_space:  global
        .offset:         32
        .size:           8
        .value_kind:     global_buffer
      - .offset:         40
        .size:           8
        .value_kind:     by_value
      - .actual_access:  read_only
        .address_space:  global
        .offset:         48
        .size:           8
        .value_kind:     global_buffer
      - .actual_access:  read_only
        .address_space:  global
        .offset:         56
        .size:           8
        .value_kind:     global_buffer
      - .offset:         64
        .size:           4
        .value_kind:     by_value
      - .actual_access:  read_only
        .address_space:  global
        .offset:         72
        .size:           8
        .value_kind:     global_buffer
      - .actual_access:  read_only
        .address_space:  global
        .offset:         80
        .size:           8
        .value_kind:     global_buffer
      - .actual_access:  read_only
        .address_space:  global
        .offset:         88
        .size:           8
        .value_kind:     global_buffer
      - .actual_access:  write_only
        .address_space:  global
        .offset:         96
        .size:           8
        .value_kind:     global_buffer
    .group_segment_fixed_size: 0
    .kernarg_segment_align: 8
    .kernarg_segment_size: 104
    .language:       OpenCL C
    .language_version:
      - 2
      - 0
    .max_flat_workgroup_size: 143
    .name:           fft_rtc_fwd_len1430_factors_13_11_10_wgs_143_tpt_143_sp_op_CI_CI_unitstride_sbrr_C2R_dirReg
    .private_segment_fixed_size: 0
    .sgpr_count:     50
    .sgpr_spill_count: 0
    .symbol:         fft_rtc_fwd_len1430_factors_13_11_10_wgs_143_tpt_143_sp_op_CI_CI_unitstride_sbrr_C2R_dirReg.kd
    .uniform_work_group_size: 1
    .uses_dynamic_stack: false
    .vgpr_count:     154
    .vgpr_spill_count: 0
    .wavefront_size: 64
amdhsa.target:   amdgcn-amd-amdhsa--gfx950
amdhsa.version:
  - 1
  - 2
...

	.end_amdgpu_metadata
